;; amdgpu-corpus repo=ROCm/rccl kind=compiled arch=gfx90a opt=O3
	.text
	.amdgcn_target "amdgcn-amd-amdhsa--gfx90a"
	.amdhsa_code_object_version 6
	.p2align	2                               ; -- Begin function _ZN12_GLOBAL__N_17runRingIm13FuncPreMulSumImE7ProtoLLLi0ELi1ELi0EEEviiP15ncclDevWorkColl
	.type	_ZN12_GLOBAL__N_17runRingIm13FuncPreMulSumImE7ProtoLLLi0ELi1ELi0EEEviiP15ncclDevWorkColl,@function
_ZN12_GLOBAL__N_17runRingIm13FuncPreMulSumImE7ProtoLLLi0ELi1ELi0EEEviiP15ncclDevWorkColl: ; @_ZN12_GLOBAL__N_17runRingIm13FuncPreMulSumImE7ProtoLLLi0ELi1ELi0EEEviiP15ncclDevWorkColl
; %bb.0:
	s_waitcnt vmcnt(0) expcnt(0) lgkmcnt(0)
	s_or_saveexec_b64 s[4:5], -1
	buffer_store_dword v63, off, s[0:3], s32 offset:96 ; 4-byte Folded Spill
	s_mov_b64 exec, s[4:5]
	buffer_store_dword v40, off, s[0:3], s32 offset:92 ; 4-byte Folded Spill
	buffer_store_dword v41, off, s[0:3], s32 offset:88 ; 4-byte Folded Spill
	;; [unrolled: 1-line block ×23, first 2 shown]
	buffer_store_dword a41, off, s[0:3], s32 ; 4-byte Folded Spill
	v_writelane_b32 v63, s34, 0
	v_writelane_b32 v63, s35, 1
	;; [unrolled: 1-line block ×22, first 2 shown]
	s_trap 2
	flat_load_dword v7, v[2:3]
	flat_load_dwordx4 v[56:59], v[2:3] offset:72
	flat_load_dwordx2 v[8:9], v[2:3] offset:88
	ds_read_b32 v4, v0
	ds_read_b64 v[22:23], v0
	v_mov_b32_e32 v24, v0
	v_mov_b32_e32 v20, v1
                                        ; implicit-def: $agpr4_agpr5
	s_waitcnt lgkmcnt(0)
	v_readfirstlane_b32 s20, v4
	s_waitcnt vmcnt(0)
	v_not_b32_sdwa v5, v7 dst_sel:DWORD dst_unused:UNUSED_PAD src0_sel:BYTE_0
	v_add_u32_sdwa v0, v7, v5 dst_sel:DWORD dst_unused:UNUSED_PAD src0_sel:BYTE_1 src1_sel:DWORD
	v_ashrrev_i32_e32 v1, 31, v0
	v_mul_lo_u32 v6, v59, v0
	v_mad_u64_u32 v[10:11], s[4:5], v58, v0, 0
	v_mul_lo_u32 v0, v58, v1
	v_add3_u32 v6, v11, v0, v6
	v_cmp_ne_u32_sdwa s[4:5], v7, v4 src0_sel:BYTE_0 src1_sel:DWORD
                                        ; implicit-def: $vgpr0_vgpr1
	s_and_saveexec_b64 s[6:7], s[4:5]
	s_xor_b64 s[4:5], exec, s[6:7]
	s_cbranch_execz .LBB0_6
; %bb.1:
	v_cmp_ne_u32_sdwa s[6:7], v7, v4 src0_sel:BYTE_1 src1_sel:DWORD
                                        ; implicit-def: $vgpr0_vgpr1
                                        ; implicit-def: $agpr4_agpr5
	s_and_saveexec_b64 s[10:11], s[6:7]
	s_xor_b64 s[6:7], exec, s[10:11]
	s_cbranch_execz .LBB0_3
; %bb.2:
	flat_load_dwordx2 v[0:1], v[2:3] offset:96
	v_add_u32_e32 v4, v4, v5
	v_ashrrev_i32_e32 v5, 31, v4
	v_mul_lo_u32 v5, v58, v5
	v_mul_lo_u32 v7, v59, v4
	v_mad_u64_u32 v[12:13], s[10:11], v58, v4, v[56:57]
	v_add3_u32 v13, v7, v13, v5
	v_accvgpr_write_b32 a4, v12
	v_accvgpr_write_b32 a5, v13
	s_waitcnt vmcnt(0) lgkmcnt(0)
	v_lshrrev_b64 v[0:1], 20, v[0:1]
.LBB0_3:
	s_andn2_saveexec_b64 s[6:7], s[6:7]
	s_cbranch_execz .LBB0_5
; %bb.4:
	flat_load_dword v0, v[2:3] offset:100
	v_add_co_u32_e32 v4, vcc, v10, v56
	v_addc_co_u32_e32 v5, vcc, v6, v57, vcc
	v_accvgpr_write_b32 a4, v4
	v_accvgpr_write_b32 a5, v5
	v_pk_mov_b32 v[58:59], v[8:9], v[8:9] op_sel:[0,1]
	s_waitcnt vmcnt(0) lgkmcnt(0)
	v_lshrrev_b32_e32 v0, 9, v0
.LBB0_5:
	s_or_b64 exec, exec, s[6:7]
.LBB0_6:
	s_andn2_saveexec_b64 s[4:5], s[4:5]
	s_cbranch_execz .LBB0_8
; %bb.7:
	flat_load_dwordx2 v[0:1], v[2:3] offset:96
	v_pk_mov_b32 v[4:5], 0, 0
	v_accvgpr_write_b32 a4, v4
	v_accvgpr_write_b32 a5, v5
	v_pk_mov_b32 v[58:59], v[56:57], v[56:57] op_sel:[0,1]
	s_waitcnt vmcnt(0) lgkmcnt(0)
	v_lshlrev_b64 v[0:1], 1, v[0:1]
.LBB0_8:
	s_or_b64 exec, exec, s[4:5]
	s_load_dword s4, s[8:9], 0x0
	flat_load_dwordx2 v[26:27], v[2:3] offset:104
	flat_load_ushort v5, v[2:3] offset:8
	flat_load_dword v4, v[2:3] offset:4
	flat_load_dwordx4 a[6:9], v[2:3] offset:16
	v_mov_b32_e32 v3, 0
	v_and_b32_e32 v1, 63, v24
	s_waitcnt lgkmcnt(0)
	s_cmp_lt_u32 s12, s4
	s_cselect_b32 s4, 12, 18
	s_add_u32 s4, s8, s4
	s_addc_u32 s5, s9, 0
	global_load_ushort v11, v3, s[4:5]
	s_trap 2
	ds_read_b32 v2, v0
	s_mov_b32 s6, 0
	v_pk_mov_b32 v[18:19], 0, 0
	v_cmp_eq_u32_e64 s[4:5], 0, v1
	s_waitcnt lgkmcnt(0)
	v_cmp_gt_i32_e32 vcc, 0, v2
	s_waitcnt vmcnt(0)
	v_lshrrev_b64 v[4:5], 31, v[4:5]
	v_and_b32_e32 v7, 3, v4
	s_cbranch_vccnz .LBB0_10
; %bb.9:
	s_trap 2
	ds_read_b64 v[4:5], v0
	v_lshlrev_b64 v[12:13], 3, v[2:3]
	v_and_b32_e32 v3, 0xffff, v7
	s_movk_i32 s6, 0xa8
	s_waitcnt lgkmcnt(0)
	v_add_co_u32_e32 v4, vcc, v4, v12
	v_addc_co_u32_e32 v5, vcc, v5, v13, vcc
	flat_load_dwordx2 v[4:5], v[4:5]
	s_waitcnt vmcnt(0) lgkmcnt(0)
	v_mad_u64_u32 v[4:5], s[6:7], v3, s6, v[4:5]
	flat_load_dwordx2 a[14:15], v[4:5] offset:504
	flat_load_dwordx2 v[36:37], v[4:5] offset:608
	v_add_co_u32_e32 v3, vcc, 0x1f8, v4
	v_addc_co_u32_e32 v4, vcc, 0, v5, vcc
	v_cndmask_b32_e64 v29, 0, v4, s[4:5]
	v_cndmask_b32_e64 v28, 0, v3, s[4:5]
	s_mov_b32 s6, 1
	s_branch .LBB0_11
.LBB0_10:
	v_pk_mov_b32 v[28:29], v[18:19], v[18:19] op_sel:[0,1]
                                        ; implicit-def: $vgpr36_vgpr37
                                        ; implicit-def: $agpr14_agpr15
.LBB0_11:
	s_trap 2
	ds_read_b32 v4, v0
	s_waitcnt lgkmcnt(0)
	v_cmp_gt_i32_e32 vcc, 0, v4
	s_cbranch_vccnz .LBB0_13
; %bb.12:
	s_trap 2
	ds_read_b64 v[12:13], v0
	v_mov_b32_e32 v5, 0
	v_lshlrev_b64 v[4:5], 3, v[4:5]
	v_and_b32_e32 v3, 0xffff, v7
	s_movk_i32 s4, 0xa8
	s_waitcnt lgkmcnt(0)
	v_add_co_u32_e32 v4, vcc, v12, v4
	v_addc_co_u32_e32 v5, vcc, v13, v5, vcc
	flat_load_dwordx2 v[4:5], v[4:5]
	v_cmp_eq_u32_e32 vcc, 0, v1
	s_waitcnt vmcnt(0) lgkmcnt(0)
	v_mad_u64_u32 v[4:5], s[4:5], v3, s4, v[4:5]
	flat_load_dwordx2 v[38:39], v[4:5]
	flat_load_dwordx2 v[16:17], v[4:5] offset:104
	v_cndmask_b32_e32 v19, 0, v5, vcc
	v_cndmask_b32_e32 v18, 0, v4, vcc
	s_branch .LBB0_14
.LBB0_13:
                                        ; implicit-def: $vgpr16_vgpr17
                                        ; implicit-def: $vgpr38_vgpr39
.LBB0_14:
	v_subrev_u32_e32 v3, 64, v20
	v_pk_mov_b32 v[12:13], 0, 0
	v_cmp_le_i32_e32 vcc, v3, v24
	v_cmp_gt_u32_e64 s[4:5], s6, v1
	v_accvgpr_write_b32 a17, v13
	s_and_b64 s[22:23], vcc, s[4:5]
	v_accvgpr_write_b32 a16, v12
                                        ; implicit-def: $vgpr48_vgpr49
	s_and_saveexec_b64 s[4:5], s[22:23]
	s_cbranch_execz .LBB0_16
; %bb.15:
	flat_load_dwordx2 a[16:17], v[28:29] offset:56
	flat_load_dwordx2 v[48:49], v[28:29] offset:104
.LBB0_16:
	s_or_b64 exec, exec, s[4:5]
	v_cmp_gt_i32_e64 s[4:5], s6, v24
	v_pk_mov_b32 v[52:53], v[12:13], v[12:13] op_sel:[0,1]
                                        ; implicit-def: $vgpr54_vgpr55
	s_and_saveexec_b64 s[6:7], s[4:5]
	s_cbranch_execz .LBB0_18
; %bb.17:
	flat_load_dwordx2 v[52:53], v[18:19] offset:56
	s_waitcnt vmcnt(0) lgkmcnt(0)
	flat_load_dwordx2 v[54:55], v[52:53] glc
	s_waitcnt vmcnt(0)
	flat_load_dwordx4 v[12:15], v[18:19] offset:96
.LBB0_18:
	s_or_b64 exec, exec, s[6:7]
	v_cmp_ne_u64_e32 vcc, 0, v[58:59]
	v_pk_mov_b32 v[40:41], 0, 0
	s_and_saveexec_b64 s[24:25], vcc
	s_cbranch_execz .LBB0_184
; %bb.19:
	v_ashrrev_i32_e32 v1, 31, v2
	v_lshrrev_b32_e32 v1, 29, v1
	v_add_u32_e32 v1, v2, v1
	v_ashrrev_i32_e32 v62, 7, v1
	v_add_co_u32_e32 v1, vcc, v8, v56
	v_addc_co_u32_e32 v2, vcc, v9, v57, vcc
	v_add_co_u32_e32 v46, vcc, v1, v10
	s_ashr_i32 s21, s20, 31
	v_addc_co_u32_e32 v47, vcc, v2, v6, vcc
	s_lshl_b64 s[6:7], s[20:21], 2
	v_mov_b32_e32 v1, s7
	v_add_co_u32_e32 v2, vcc, s6, v22
	v_addc_co_u32_e32 v1, vcc, v23, v1, vcc
	v_add_co_u32_e32 v2, vcc, -4, v2
	v_addc_co_u32_e32 v3, vcc, -1, v1, vcc
	v_and_b32_e32 v1, 63, v31
	v_ashrrev_i32_e32 v21, 31, v20
	v_cmp_eq_u32_e64 s[12:13], 0, v1
	v_lshrrev_b32_e32 v1, 26, v21
	v_mov_b32_e32 v45, 0
	v_accvgpr_write_b32 a19, v3
	v_add_u32_e32 v1, v20, v1
	v_and_b32_e32 v4, 0x3ffffe, v0
	v_mov_b32_e32 v5, v45
	v_accvgpr_write_b32 a18, v2
	v_ashrrev_i32_e32 v2, 6, v1
	v_pk_mov_b32 v[32:33], v[4:5], v[4:5] op_sel:[0,1]
	v_accvgpr_write_b32 a20, v2
	v_ashrrev_i32_e32 v1, 31, v2
	v_ashrrev_i32_e32 v25, 31, v24
	v_accvgpr_read_b32 v2, a6
	v_lshlrev_b64 v[8:9], 3, v[24:25]
	v_accvgpr_read_b32 v4, a8
	v_accvgpr_write_b32 a21, v1
	v_accvgpr_read_b32 v5, a9
	v_add_co_u32_e32 v1, vcc, v4, v8
	v_accvgpr_write_b32 a24, v1
	v_addc_co_u32_e32 v1, vcc, v5, v9, vcc
	v_accvgpr_read_b32 v3, a7
	v_accvgpr_write_b32 a25, v1
	v_add_co_u32_e32 v1, vcc, v2, v8
	v_accvgpr_write_b32 a26, v1
	v_addc_co_u32_e32 v1, vcc, v3, v9, vcc
	v_and_b32_e32 v44, 7, v2
	v_accvgpr_read_b32 v2, a4
	v_accvgpr_read_b32 v3, a5
	v_cmp_eq_u64_e32 vcc, 0, v[44:45]
	v_lshlrev_b64 v[2:3], 3, v[2:3]
	v_accvgpr_write_b32 a27, v1
	v_cndmask_b32_e64 v30, 0, 1, vcc
	v_add_co_u32_e32 v1, vcc, v2, v8
	v_lshlrev_b32_e32 v0, 3, v0
	v_addc_co_u32_e32 v2, vcc, v3, v9, vcc
	v_and_b32_e32 v0, 0x1fffff0, v0
	v_add_co_u32_e32 v50, vcc, v4, v1
	v_accvgpr_write_b32 a32, v0
	v_lshlrev_b64 v[0:1], 3, v[46:47]
	v_accvgpr_write_b32 a35, v1
	v_addc_co_u32_e32 v51, vcc, v5, v2, vcc
	v_accvgpr_write_b32 a34, v0
	v_lshlrev_b64 v[0:1], 4, v[24:25]
	s_waitcnt vmcnt(0) lgkmcnt(0)
	v_accvgpr_read_b32 v6, a16
	v_add_co_u32_e32 v0, vcc, v38, v0
	v_accvgpr_write_b32 a12, v28
	v_accvgpr_write_b32 a10, v18
	s_cmp_gt_i32 s20, 2
	v_accvgpr_read_b32 v7, a17
	v_accvgpr_write_b32 a23, v9
	v_accvgpr_write_b32 a29, v0
	v_addc_co_u32_e32 v0, vcc, v39, v1, vcc
	v_pk_mov_b32 v[42:43], 0, 0
	v_accvgpr_write_b32 a2, v58
	v_accvgpr_write_b32 a6, v32
	v_accvgpr_write_b32 a13, v29
	v_accvgpr_write_b32 a11, v19
	s_mov_b64 s[26:27], 0
	v_cmp_ne_u64_e64 s[6:7], 0, v[52:53]
	v_cmp_ne_u64_e64 s[8:9], 0, v[12:13]
	v_cmp_ne_u32_e64 s[10:11], 64, v20
	v_accvgpr_write_b32 a1, v11
	v_cmp_ne_u32_sdwa s[28:29], v11, v20 src0_sel:WORD_0 src1_sel:DWORD
	v_accvgpr_write_b32 a0, v31
	s_cselect_b64 s[30:31], -1, 0
	v_cmp_ne_u64_e64 s[14:15], 0, v[6:7]
	v_accvgpr_write_b32 a22, v8
	v_lshlrev_b64 v[28:29], 3, v[20:21]
	v_accvgpr_write_b32 a33, v0
	s_movk_i32 s21, 0x2710
	s_mov_b64 s[34:35], 0x7ffffff8
	v_mov_b32_e32 v31, 0
	v_lshlrev_b64 v[60:61], 4, v[20:21]
	v_pk_mov_b32 v[40:41], v[42:43], v[42:43] op_sel:[0,1]
	v_accvgpr_write_b32 a3, v59
	v_accvgpr_write_b32 a7, v33
	s_branch .LBB0_21
.LBB0_20:                               ;   in Loop: Header=BB0_21 Depth=1
	s_or_b64 exec, exec, s[16:17]
	v_add_co_u32_e32 v36, vcc, 1, v36
	v_addc_co_u32_e32 v37, vcc, 0, v37, vcc
	v_add_co_u32_e32 v42, vcc, v42, v32
	v_addc_co_u32_e32 v43, vcc, 0, v43, vcc
	v_cmp_ge_u64_e32 vcc, v[42:43], v[58:59]
	v_accvgpr_read_b32 v0, a32
	s_or_b64 s[26:27], vcc, s[26:27]
	v_add_co_u32_e32 v50, vcc, v50, v0
	v_addc_co_u32_e32 v51, vcc, 0, v51, vcc
	s_andn2_b64 exec, exec, s[26:27]
	s_cbranch_execz .LBB0_183
.LBB0_21:                               ; =>This Loop Header: Depth=1
                                        ;     Child Loop BB0_28 Depth 2
                                        ;     Child Loop BB0_45 Depth 2
	;; [unrolled: 1-line block ×5, first 2 shown]
                                        ;       Child Loop BB0_81 Depth 3
                                        ;       Child Loop BB0_97 Depth 3
                                        ;       Child Loop BB0_112 Depth 3
                                        ;         Child Loop BB0_116 Depth 4
                                        ;       Child Loop BB0_130 Depth 3
                                        ;       Child Loop BB0_74 Depth 3
                                        ;     Child Loop BB0_145 Depth 2
                                        ;       Child Loop BB0_149 Depth 3
                                        ;     Child Loop BB0_171 Depth 2
	v_accvgpr_read_b32 v0, a18
	v_accvgpr_read_b32 v1, a19
	s_waitcnt vmcnt(0) lgkmcnt(0)
	flat_load_dword v2, v[0:1]
	v_sub_co_u32_e32 v0, vcc, v58, v42
	v_subb_co_u32_e32 v1, vcc, v59, v43, vcc
	v_cmp_lt_u64_e32 vcc, v[32:33], v[0:1]
	v_cndmask_b32_e32 v0, v0, v32, vcc
	v_accvgpr_write_b32 a38, v0
	s_and_saveexec_b64 s[16:17], s[6:7]
	s_cbranch_execz .LBB0_37
; %bb.22:                               ;   in Loop: Header=BB0_21 Depth=1
	v_add_co_u32_e32 v0, vcc, 1, v14
	v_addc_co_u32_e32 v1, vcc, 0, v15, vcc
	v_add_co_u32_e32 v4, vcc, 8, v54
	v_addc_co_u32_e32 v5, vcc, 0, v55, vcc
	v_cmp_lt_u64_e32 vcc, v[4:5], v[0:1]
	s_and_saveexec_b64 s[18:19], vcc
	s_cbranch_execz .LBB0_34
; %bb.23:                               ;   in Loop: Header=BB0_21 Depth=1
	s_sleep 1
	flat_load_dwordx2 v[54:55], v[52:53] glc
	v_cmp_eq_u32_e32 vcc, 0, v31
	s_and_saveexec_b64 s[36:37], vcc
	s_cbranch_execz .LBB0_33
; %bb.24:                               ;   in Loop: Header=BB0_21 Depth=1
	v_cndmask_b32_e64 v3, 0, 1, vcc
	s_mov_b64 s[38:39], 0
                                        ; implicit-def: $sgpr40_sgpr41
	s_branch .LBB0_28
.LBB0_25:                               ;   in Loop: Header=BB0_28 Depth=2
	s_or_b64 exec, exec, s[48:49]
	s_orn2_b64 s[46:47], s[46:47], exec
.LBB0_26:                               ;   in Loop: Header=BB0_28 Depth=2
	s_or_b64 exec, exec, s[44:45]
	s_xor_b64 vcc, s[46:47], -1
	s_andn2_b64 s[40:41], s[40:41], exec
	s_and_b64 vcc, vcc, exec
	s_or_b64 s[40:41], s[40:41], vcc
.LBB0_27:                               ;   in Loop: Header=BB0_28 Depth=2
	s_or_b64 exec, exec, s[42:43]
	s_and_b64 vcc, exec, s[40:41]
	s_or_b64 s[38:39], vcc, s[38:39]
	s_andn2_b64 exec, exec, s[38:39]
	s_cbranch_execz .LBB0_32
.LBB0_28:                               ;   Parent Loop BB0_21 Depth=1
                                        ; =>  This Inner Loop Header: Depth=2
	s_waitcnt vmcnt(0) lgkmcnt(0)
	v_add_co_u32_e32 v4, vcc, 8, v54
	v_addc_co_u32_e32 v5, vcc, 0, v55, vcc
	v_cmp_lt_u64_e32 vcc, v[4:5], v[0:1]
	v_mov_b32_e32 v31, 0
	s_or_b64 s[40:41], s[40:41], exec
	s_and_saveexec_b64 s[42:43], vcc
	s_cbranch_execz .LBB0_27
; %bb.29:                               ;   in Loop: Header=BB0_28 Depth=2
	s_sleep 1
	flat_load_dwordx2 v[54:55], v[52:53] glc
	v_add_u32_e32 v3, 1, v3
	v_cmp_eq_u32_e32 vcc, s21, v3
	s_mov_b64 s[46:47], -1
	v_mov_b32_e32 v31, 0
	s_and_saveexec_b64 s[44:45], vcc
	s_cbranch_execz .LBB0_26
; %bb.30:                               ;   in Loop: Header=BB0_28 Depth=2
	s_trap 2
	ds_read_b64 v[4:5], v0
	v_mov_b32_e32 v3, 0
	v_mov_b32_e32 v31, 0
	s_waitcnt vmcnt(0) lgkmcnt(0)
	flat_load_dword v4, v[4:5] glc
	s_waitcnt vmcnt(0) lgkmcnt(0)
	buffer_invl2
	buffer_wbinvl1_vol
	v_cmp_ne_u32_e32 vcc, 0, v4
	s_and_saveexec_b64 s[48:49], vcc
	s_cbranch_execz .LBB0_25
; %bb.31:                               ;   in Loop: Header=BB0_28 Depth=2
	v_mov_b32_e32 v31, 1
	s_xor_b64 s[46:47], exec, -1
	ds_write_b32 v0, v4
	s_trap 2
	s_branch .LBB0_25
.LBB0_32:                               ;   in Loop: Header=BB0_21 Depth=1
	s_or_b64 exec, exec, s[38:39]
.LBB0_33:                               ;   in Loop: Header=BB0_21 Depth=1
	s_or_b64 exec, exec, s[36:37]
.LBB0_34:                               ;   in Loop: Header=BB0_21 Depth=1
	s_or_b64 exec, exec, s[18:19]
	s_and_saveexec_b64 s[18:19], s[8:9]
	s_cbranch_execz .LBB0_36
; %bb.35:                               ;   in Loop: Header=BB0_21 Depth=1
	v_and_b32_e32 v44, 0x7ffffff8, v14
	v_cmp_eq_u64_e32 vcc, s[34:35], v[44:45]
	v_accvgpr_read_b32 v3, a38
	v_cndmask_b32_e32 v3, v3, v62, vcc
	v_lshlrev_b32_e32 v4, 4, v3
	v_and_b32_e32 v3, 7, v14
	v_ashrrev_i32_e32 v5, 31, v4
	v_mad_u64_u32 v[6:7], vcc, v3, 24, v[12:13]
	flat_store_dwordx2 v[6:7], v[4:5] offset:8
	s_waitcnt vmcnt(0)
.LBB0_36:                               ;   in Loop: Header=BB0_21 Depth=1
	s_or_b64 exec, exec, s[18:19]
	v_pk_mov_b32 v[14:15], v[0:1], v[0:1] op_sel:[0,1]
.LBB0_37:                               ;   in Loop: Header=BB0_21 Depth=1
	s_or_b64 exec, exec, s[16:17]
	s_and_saveexec_b64 s[16:17], s[10:11]
	s_cbranch_execz .LBB0_56
; %bb.38:                               ;   in Loop: Header=BB0_21 Depth=1
	s_and_saveexec_b64 s[18:19], s[28:29]
	s_xor_b64 s[18:19], exec, s[18:19]
	s_cbranch_execz .LBB0_53
; %bb.39:                               ;   in Loop: Header=BB0_21 Depth=1
	s_and_saveexec_b64 s[36:37], s[12:13]
	s_cbranch_execz .LBB0_52
; %bb.40:                               ;   in Loop: Header=BB0_21 Depth=1
	s_mov_b64 s[40:41], exec
	v_mbcnt_lo_u32_b32 v0, s40, 0
	v_mbcnt_hi_u32_b32 v0, s41, v0
	v_cmp_eq_u32_e32 vcc, 0, v0
	s_waitcnt vmcnt(0) lgkmcnt(0)
	buffer_wbinvl1_vol
	s_and_saveexec_b64 s[38:39], vcc
	s_cbranch_execz .LBB0_42
; %bb.41:                               ;   in Loop: Header=BB0_21 Depth=1
	s_bcnt1_i32_b64 vcc_lo, s[40:41]
	v_mov_b32_e32 v44, vcc_lo
	ds_add_u64 v0, v[44:45]
	s_trap 2
.LBB0_42:                               ;   in Loop: Header=BB0_21 Depth=1
	s_or_b64 exec, exec, s[38:39]
	s_trap 2
	ds_read_b64 v[0:1], v0
	v_accvgpr_read_b32 v4, a20
	v_add_co_u32_e32 v40, vcc, v40, v4
	v_accvgpr_read_b32 v3, a21
	v_addc_co_u32_e32 v41, vcc, v41, v3, vcc
	s_waitcnt lgkmcnt(0)
	v_cmp_lt_u64_e32 vcc, v[0:1], v[40:41]
	s_and_saveexec_b64 s[38:39], vcc
	s_cbranch_execz .LBB0_51
; %bb.43:                               ;   in Loop: Header=BB0_21 Depth=1
	s_mov_b32 s50, 0
	s_mov_b64 s[40:41], 0
                                        ; implicit-def: $sgpr42_sgpr43
                                        ; implicit-def: $sgpr44_sgpr45
	s_branch .LBB0_45
.LBB0_44:                               ;   in Loop: Header=BB0_45 Depth=2
	s_or_b64 exec, exec, s[48:49]
	s_and_b64 vcc, exec, vcc
	s_or_b64 s[40:41], vcc, s[40:41]
	s_andn2_b64 vcc, s[42:43], exec
	s_and_b64 s[42:43], s[44:45], exec
	s_or_b64 s[42:43], vcc, s[42:43]
	s_andn2_b64 exec, exec, s[40:41]
	s_cbranch_execz .LBB0_49
.LBB0_45:                               ;   Parent Loop BB0_21 Depth=1
                                        ; =>  This Inner Loop Header: Depth=2
	s_add_i32 s50, s50, 1
	s_cmpk_lg_i32 s50, 0x2710
	s_cselect_b64 s[46:47], -1, 0
	s_and_b64 vcc, exec, s[46:47]
                                        ; implicit-def: $sgpr48_sgpr49
	s_cbranch_vccnz .LBB0_47
; %bb.46:                               ;   in Loop: Header=BB0_45 Depth=2
	s_trap 2
	ds_read_b64 v[0:1], v0
	s_andn2_b64 s[46:47], s[46:47], exec
	s_mov_b32 s50, 0
	s_mov_b64 s[48:49], -1
	s_waitcnt lgkmcnt(0)
	flat_load_dword v0, v[0:1] glc
	s_waitcnt vmcnt(0) lgkmcnt(0)
	buffer_invl2
	buffer_wbinvl1_vol
	v_cmp_eq_u32_e32 vcc, 0, v0
	s_and_b64 vcc, vcc, exec
	s_or_b64 s[46:47], s[46:47], vcc
.LBB0_47:                               ;   in Loop: Header=BB0_45 Depth=2
	s_andn2_b64 s[44:45], s[44:45], exec
	s_and_b64 s[48:49], s[48:49], exec
	s_mov_b64 vcc, -1
	s_or_b64 s[44:45], s[44:45], s[48:49]
	s_and_saveexec_b64 s[48:49], s[46:47]
	s_cbranch_execz .LBB0_44
; %bb.48:                               ;   in Loop: Header=BB0_45 Depth=2
	s_sleep 1
	s_trap 2
	ds_read_b64 v[0:1], v0
	s_andn2_b64 s[44:45], s[44:45], exec
	s_waitcnt lgkmcnt(0)
	v_cmp_ge_u64_e32 vcc, v[0:1], v[40:41]
	s_orn2_b64 vcc, vcc, exec
	s_branch .LBB0_44
.LBB0_49:                               ;   in Loop: Header=BB0_21 Depth=1
	s_or_b64 exec, exec, s[40:41]
	s_and_saveexec_b64 vcc, s[42:43]
	s_xor_b64 vcc, exec, vcc
	s_cbranch_execz .LBB0_51
; %bb.50:                               ;   in Loop: Header=BB0_21 Depth=1
	v_mov_b32_e32 v0, 1
	ds_write_b32 v0, v0
	s_trap 2
.LBB0_51:                               ;   in Loop: Header=BB0_21 Depth=1
	s_or_b64 exec, exec, s[38:39]
	;;#ASMSTART
	s_wakeup
	;;#ASMEND
.LBB0_52:                               ;   in Loop: Header=BB0_21 Depth=1
	s_or_b64 exec, exec, s[36:37]
.LBB0_53:                               ;   in Loop: Header=BB0_21 Depth=1
	s_andn2_saveexec_b64 s[18:19], s[18:19]
	s_cbranch_execz .LBB0_55
; %bb.54:                               ;   in Loop: Header=BB0_21 Depth=1
	s_waitcnt vmcnt(0) lgkmcnt(0)
	buffer_wbinvl1_vol
	s_barrier
.LBB0_55:                               ;   in Loop: Header=BB0_21 Depth=1
	s_or_b64 exec, exec, s[18:19]
.LBB0_56:                               ;   in Loop: Header=BB0_21 Depth=1
	s_or_b64 exec, exec, s[16:17]
	v_accvgpr_read_b32 v0, a38
	v_sub_u32_e32 v34, v0, v24
	v_cmp_lt_i32_e64 s[16:17], 0, v34
	v_and_b32_e32 v1, 7, v16
	v_mov_b32_e32 v0, v24
	s_and_saveexec_b64 s[18:19], s[16:17]
	s_cbranch_execz .LBB0_60
; %bb.57:                               ;   in Loop: Header=BB0_21 Depth=1
	v_accvgpr_read_b32 v10, a34
	s_waitcnt vmcnt(0) lgkmcnt(0)
	v_ashrrev_i32_e32 v0, 31, v2
	v_mul_lo_u32 v4, v1, v62
	v_mov_b32_e32 v3, v16
	v_add_co_u32_e64 v8, vcc, 0, 0
	v_accvgpr_read_b32 v11, a35
	v_ashrrev_i32_e32 v5, 31, v4
	v_addc_co_u32_e32 v3, vcc, 1, v3, vcc
	v_mad_u64_u32 v[6:7], vcc, v10, v2, v[50:51]
	v_mul_lo_u32 v2, v11, v2
	v_mul_lo_u32 v0, v10, v0
	v_add3_u32 v7, v2, v7, v0
	v_lshlrev_b64 v[4:5], 4, v[4:5]
	v_accvgpr_read_b32 v0, a29
	v_add_co_u32_e32 v10, vcc, v0, v4
	v_accvgpr_read_b32 v0, a33
	v_addc_co_u32_e32 v11, vcc, v0, v5, vcc
	s_mov_b64 s[36:37], 0
	v_mov_b32_e32 v9, v34
	v_mov_b32_e32 v0, v24
.LBB0_58:                               ;   Parent Loop BB0_21 Depth=1
                                        ; =>  This Inner Loop Header: Depth=2
	global_load_dwordx2 v[18:19], v[6:7], off glc slc
	v_add_co_u32_e32 v6, vcc, v6, v28
	v_sub_u32_e32 v9, v9, v20
	v_addc_co_u32_e32 v7, vcc, v7, v29, vcc
	v_cmp_gt_i32_e32 vcc, 1, v9
	s_or_b64 s[36:37], vcc, s[36:37]
	v_mov_b32_e32 v5, v3
	v_add_u32_e32 v0, v0, v20
	s_waitcnt vmcnt(0)
	v_mul_lo_u32 v2, v19, v26
	v_mul_lo_u32 v4, v18, v27
	v_mad_u64_u32 v[18:19], vcc, v18, v26, 0
	v_add3_u32 v4, v19, v4, v2
	v_or_b32_e32 v2, v8, v18
	v_or_b32_e32 v4, v8, v4
	global_store_dwordx4 v[10:11], v[2:5], off
	v_add_co_u32_e32 v10, vcc, v10, v60
	v_addc_co_u32_e32 v11, vcc, v11, v61, vcc
	s_andn2_b64 exec, exec, s[36:37]
	s_cbranch_execnz .LBB0_58
; %bb.59:                               ;   in Loop: Header=BB0_21 Depth=1
	s_or_b64 exec, exec, s[36:37]
.LBB0_60:                               ;   in Loop: Header=BB0_21 Depth=1
	s_or_b64 exec, exec, s[18:19]
	v_and_b32_e32 v44, 0x7ffffff8, v16
	v_cmp_eq_u64_e32 vcc, s[34:35], v[44:45]
	v_cmp_gt_i32_e64 s[18:19], v62, v0
	s_and_b64 s[18:19], vcc, s[18:19]
	s_and_saveexec_b64 s[36:37], s[18:19]
	s_cbranch_execz .LBB0_63
; %bb.61:                               ;   in Loop: Header=BB0_21 Depth=1
	v_mul_lo_u32 v4, v1, v62
	v_mov_b32_e32 v1, v16
	s_waitcnt vmcnt(0) lgkmcnt(0)
	v_add_co_u32_e64 v2, vcc, 0, 0
	v_ashrrev_i32_e32 v5, 31, v4
	v_addc_co_u32_e32 v3, vcc, 1, v1, vcc
	v_ashrrev_i32_e32 v1, 31, v0
	v_lshlrev_b64 v[6:7], 4, v[0:1]
	v_lshlrev_b64 v[4:5], 4, v[4:5]
	v_add_co_u32_e32 v1, vcc, v6, v4
	v_addc_co_u32_e32 v4, vcc, v7, v5, vcc
	v_add_co_u32_e32 v6, vcc, v38, v1
	v_addc_co_u32_e32 v7, vcc, v39, v4, vcc
	s_mov_b64 s[38:39], 0
.LBB0_62:                               ;   Parent Loop BB0_21 Depth=1
                                        ; =>  This Inner Loop Header: Depth=2
	v_mov_b32_e32 v4, v2
	v_mov_b32_e32 v5, v3
	v_add_u32_e32 v0, v0, v20
	global_store_dwordx4 v[6:7], v[2:5], off
	v_cmp_ge_i32_e32 vcc, v0, v62
	v_add_co_u32_e64 v6, s[18:19], v6, v60
	s_or_b64 s[38:39], vcc, s[38:39]
	v_addc_co_u32_e64 v7, vcc, v7, v61, s[18:19]
	s_andn2_b64 exec, exec, s[38:39]
	s_cbranch_execnz .LBB0_62
.LBB0_63:                               ;   in Loop: Header=BB0_21 Depth=1
	s_or_b64 exec, exec, s[36:37]
	v_accvgpr_read_b32 v0, a4
	v_accvgpr_read_b32 v1, a5
	v_add_co_u32_e32 v0, vcc, v42, v0
	v_addc_co_u32_e32 v1, vcc, v43, v1, vcc
	v_add_co_u32_e32 v10, vcc, 1, v16
	v_addc_co_u32_e32 v11, vcc, 0, v17, vcc
	s_andn2_b64 vcc, exec, s[30:31]
	v_lshlrev_b64 v[8:9], 3, v[0:1]
	s_cbranch_vccnz .LBB0_141
; %bb.64:                               ;   in Loop: Header=BB0_21 Depth=1
	v_accvgpr_read_b32 v0, a24
	v_accvgpr_write_b32 a36, v42
	v_accvgpr_write_b32 a30, v50
	v_add_co_u32_e32 v56, vcc, v0, v8
	v_accvgpr_read_b32 v0, a25
	v_accvgpr_write_b32 a41, v9
	v_accvgpr_write_b32 a37, v43
	;; [unrolled: 1-line block ×5, first 2 shown]
	v_addc_co_u32_e32 v57, vcc, v0, v9, vcc
	v_add_u16_e32 v21, 1, v16
	s_mov_b32 s52, 2
	s_branch .LBB0_66
.LBB0_65:                               ;   in Loop: Header=BB0_66 Depth=2
	s_or_b64 exec, exec, s[36:37]
	v_add_co_u32_e32 v36, vcc, 1, v36
	v_addc_co_u32_e32 v37, vcc, 0, v37, vcc
	s_add_i32 s52, s52, 1
	v_add_co_u32_e32 v10, vcc, 1, v10
	v_addc_co_u32_e32 v11, vcc, 0, v11, vcc
	s_cmp_eq_u32 s52, s20
	v_add_u16_e32 v21, 1, v21
	s_cbranch_scc1 .LBB0_142
.LBB0_66:                               ;   Parent Loop BB0_21 Depth=1
                                        ; =>  This Loop Header: Depth=2
                                        ;       Child Loop BB0_81 Depth 3
                                        ;       Child Loop BB0_97 Depth 3
	;; [unrolled: 1-line block ×3, first 2 shown]
                                        ;         Child Loop BB0_116 Depth 4
                                        ;       Child Loop BB0_130 Depth 3
                                        ;       Child Loop BB0_74 Depth 3
	s_sub_i32 s18, s20, s52
	s_ashr_i32 s19, s18, 31
	s_lshl_b64 s[18:19], s[18:19], 2
	v_mov_b32_e32 v1, s19
	v_add_co_u32_e32 v0, vcc, s18, v22
	v_addc_co_u32_e32 v1, vcc, v23, v1, vcc
	s_waitcnt vmcnt(0) lgkmcnt(0)
	flat_load_dword v2, v[0:1]
	s_and_saveexec_b64 s[18:19], s[6:7]
	s_cbranch_execnz .LBB0_75
; %bb.67:                               ;   in Loop: Header=BB0_66 Depth=2
	s_or_b64 exec, exec, s[18:19]
	s_and_saveexec_b64 s[18:19], s[10:11]
	s_cbranch_execnz .LBB0_90
.LBB0_68:                               ;   in Loop: Header=BB0_66 Depth=2
	s_or_b64 exec, exec, s[18:19]
	v_mov_b32_e32 v0, v24
	s_and_saveexec_b64 s[36:37], s[16:17]
	s_cbranch_execnz .LBB0_108
.LBB0_69:                               ;   in Loop: Header=BB0_66 Depth=2
	s_or_b64 exec, exec, s[36:37]
	s_and_saveexec_b64 s[18:19], s[10:11]
	s_cbranch_execnz .LBB0_123
.LBB0_70:                               ;   in Loop: Header=BB0_66 Depth=2
	s_or_b64 exec, exec, s[18:19]
	s_and_saveexec_b64 s[18:19], s[14:15]
	s_cbranch_execz .LBB0_72
.LBB0_71:                               ;   in Loop: Header=BB0_66 Depth=2
	v_add_co_u32_e32 v48, vcc, 1, v48
	s_waitcnt vmcnt(0) lgkmcnt(0)
	v_accvgpr_read_b32 v2, a16
	v_addc_co_u32_e32 v49, vcc, 0, v49, vcc
	v_accvgpr_read_b32 v3, a17
	flat_store_dwordx2 v[2:3], v[48:49]
.LBB0_72:                               ;   in Loop: Header=BB0_66 Depth=2
	s_or_b64 exec, exec, s[18:19]
	v_and_b32_e32 v44, 0x7ffffff8, v10
	v_cmp_eq_u64_e32 vcc, s[34:35], v[44:45]
	v_cmp_gt_i32_e64 s[18:19], v62, v0
	s_and_b64 s[18:19], vcc, s[18:19]
	s_and_saveexec_b64 s[36:37], s[18:19]
	s_cbranch_execz .LBB0_65
; %bb.73:                               ;   in Loop: Header=BB0_66 Depth=2
	v_and_b32_e32 v1, 7, v21
	s_waitcnt vmcnt(0) lgkmcnt(0)
	v_mul_lo_u32 v2, v62, v1
	v_ashrrev_i32_e32 v3, 31, v2
	v_lshlrev_b64 v[4:5], 4, v[2:3]
	v_mov_b32_e32 v1, v10
	v_add_co_u32_e64 v2, vcc, 0, 0
	v_addc_co_u32_e32 v3, vcc, 1, v1, vcc
	v_ashrrev_i32_e32 v1, 31, v0
	v_lshlrev_b64 v[6:7], 4, v[0:1]
	v_add_co_u32_e32 v1, vcc, v6, v4
	v_addc_co_u32_e32 v4, vcc, v7, v5, vcc
	v_add_co_u32_e32 v6, vcc, v38, v1
	v_addc_co_u32_e32 v7, vcc, v39, v4, vcc
	s_mov_b64 s[38:39], 0
.LBB0_74:                               ;   Parent Loop BB0_21 Depth=1
                                        ;     Parent Loop BB0_66 Depth=2
                                        ; =>    This Inner Loop Header: Depth=3
	v_mov_b32_e32 v4, v2
	v_mov_b32_e32 v5, v3
	v_add_u32_e32 v0, v0, v20
	global_store_dwordx4 v[6:7], v[2:5], off
	v_cmp_ge_i32_e32 vcc, v0, v62
	v_add_co_u32_e64 v6, s[18:19], v6, v60
	s_or_b64 s[38:39], vcc, s[38:39]
	v_addc_co_u32_e64 v7, vcc, v7, v61, s[18:19]
	s_andn2_b64 exec, exec, s[38:39]
	s_cbranch_execnz .LBB0_74
	s_branch .LBB0_65
.LBB0_75:                               ;   in Loop: Header=BB0_66 Depth=2
	v_add_co_u32_e32 v0, vcc, 1, v14
	v_addc_co_u32_e32 v1, vcc, 0, v15, vcc
	v_add_co_u32_e32 v4, vcc, 8, v54
	v_addc_co_u32_e32 v5, vcc, 0, v55, vcc
	v_cmp_lt_u64_e32 vcc, v[4:5], v[0:1]
	s_and_saveexec_b64 s[36:37], vcc
	s_cbranch_execz .LBB0_87
; %bb.76:                               ;   in Loop: Header=BB0_66 Depth=2
	s_sleep 1
	flat_load_dwordx2 v[54:55], v[52:53] glc
	v_cmp_eq_u32_e32 vcc, 0, v31
	s_and_saveexec_b64 s[38:39], vcc
	s_cbranch_execz .LBB0_86
; %bb.77:                               ;   in Loop: Header=BB0_66 Depth=2
	v_cndmask_b32_e64 v3, 0, 1, vcc
	s_mov_b64 s[40:41], 0
                                        ; implicit-def: $sgpr42_sgpr43
	s_branch .LBB0_81
.LBB0_78:                               ;   in Loop: Header=BB0_81 Depth=3
	s_or_b64 exec, exec, s[50:51]
	s_orn2_b64 s[48:49], s[48:49], exec
.LBB0_79:                               ;   in Loop: Header=BB0_81 Depth=3
	s_or_b64 exec, exec, s[46:47]
	s_xor_b64 vcc, s[48:49], -1
	s_andn2_b64 s[42:43], s[42:43], exec
	s_and_b64 vcc, vcc, exec
	s_or_b64 s[42:43], s[42:43], vcc
.LBB0_80:                               ;   in Loop: Header=BB0_81 Depth=3
	s_or_b64 exec, exec, s[44:45]
	s_and_b64 vcc, exec, s[42:43]
	s_or_b64 s[40:41], vcc, s[40:41]
	s_andn2_b64 exec, exec, s[40:41]
	s_cbranch_execz .LBB0_85
.LBB0_81:                               ;   Parent Loop BB0_21 Depth=1
                                        ;     Parent Loop BB0_66 Depth=2
                                        ; =>    This Inner Loop Header: Depth=3
	s_waitcnt vmcnt(0) lgkmcnt(0)
	v_add_co_u32_e32 v4, vcc, 8, v54
	v_addc_co_u32_e32 v5, vcc, 0, v55, vcc
	v_cmp_lt_u64_e32 vcc, v[4:5], v[0:1]
	v_mov_b32_e32 v31, 0
	s_or_b64 s[42:43], s[42:43], exec
	s_and_saveexec_b64 s[44:45], vcc
	s_cbranch_execz .LBB0_80
; %bb.82:                               ;   in Loop: Header=BB0_81 Depth=3
	s_sleep 1
	flat_load_dwordx2 v[54:55], v[52:53] glc
	v_add_u32_e32 v3, 1, v3
	v_cmp_eq_u32_e32 vcc, s21, v3
	s_mov_b64 s[48:49], -1
	v_mov_b32_e32 v31, 0
	s_and_saveexec_b64 s[46:47], vcc
	s_cbranch_execz .LBB0_79
; %bb.83:                               ;   in Loop: Header=BB0_81 Depth=3
	s_trap 2
	ds_read_b64 v[4:5], v0
	v_mov_b32_e32 v3, 0
	v_mov_b32_e32 v31, 0
	s_waitcnt vmcnt(0) lgkmcnt(0)
	flat_load_dword v4, v[4:5] glc
	s_waitcnt vmcnt(0) lgkmcnt(0)
	buffer_invl2
	buffer_wbinvl1_vol
	v_cmp_ne_u32_e32 vcc, 0, v4
	s_and_saveexec_b64 s[50:51], vcc
	s_cbranch_execz .LBB0_78
; %bb.84:                               ;   in Loop: Header=BB0_81 Depth=3
	v_mov_b32_e32 v31, 1
	s_xor_b64 s[48:49], exec, -1
	ds_write_b32 v0, v4
	s_trap 2
	s_branch .LBB0_78
.LBB0_85:                               ;   in Loop: Header=BB0_66 Depth=2
	s_or_b64 exec, exec, s[40:41]
.LBB0_86:                               ;   in Loop: Header=BB0_66 Depth=2
	s_or_b64 exec, exec, s[38:39]
.LBB0_87:                               ;   in Loop: Header=BB0_66 Depth=2
	s_or_b64 exec, exec, s[36:37]
	s_and_saveexec_b64 s[36:37], s[8:9]
	s_cbranch_execz .LBB0_89
; %bb.88:                               ;   in Loop: Header=BB0_66 Depth=2
	v_and_b32_e32 v44, 0x7ffffff8, v14
	v_cmp_eq_u64_e32 vcc, s[34:35], v[44:45]
	v_accvgpr_read_b32 v3, a38
	v_cndmask_b32_e32 v3, v3, v62, vcc
	v_lshlrev_b32_e32 v4, 4, v3
	v_and_b32_e32 v3, 7, v14
	v_ashrrev_i32_e32 v5, 31, v4
	v_mad_u64_u32 v[6:7], vcc, v3, 24, v[12:13]
	flat_store_dwordx2 v[6:7], v[4:5] offset:8
	s_waitcnt vmcnt(0)
.LBB0_89:                               ;   in Loop: Header=BB0_66 Depth=2
	s_or_b64 exec, exec, s[36:37]
	v_pk_mov_b32 v[14:15], v[0:1], v[0:1] op_sel:[0,1]
	s_or_b64 exec, exec, s[18:19]
	s_and_saveexec_b64 s[18:19], s[10:11]
	s_cbranch_execz .LBB0_68
.LBB0_90:                               ;   in Loop: Header=BB0_66 Depth=2
	s_and_saveexec_b64 vcc, s[28:29]
	s_xor_b64 s[36:37], exec, vcc
	s_cbranch_execz .LBB0_105
; %bb.91:                               ;   in Loop: Header=BB0_66 Depth=2
	s_and_saveexec_b64 s[38:39], s[12:13]
	s_cbranch_execz .LBB0_104
; %bb.92:                               ;   in Loop: Header=BB0_66 Depth=2
	s_mov_b64 s[42:43], exec
	v_mbcnt_lo_u32_b32 v0, s42, 0
	v_mbcnt_hi_u32_b32 v0, s43, v0
	v_cmp_eq_u32_e32 vcc, 0, v0
	s_waitcnt vmcnt(0) lgkmcnt(0)
	buffer_wbinvl1_vol
	s_and_saveexec_b64 s[40:41], vcc
	s_cbranch_execz .LBB0_94
; %bb.93:                               ;   in Loop: Header=BB0_66 Depth=2
	s_bcnt1_i32_b64 vcc_lo, s[42:43]
	v_mov_b32_e32 v44, vcc_lo
	ds_add_u64 v0, v[44:45]
	s_trap 2
.LBB0_94:                               ;   in Loop: Header=BB0_66 Depth=2
	s_or_b64 exec, exec, s[40:41]
	s_trap 2
	ds_read_b64 v[0:1], v0
	v_accvgpr_read_b32 v4, a20
	v_add_co_u32_e32 v40, vcc, v40, v4
	v_accvgpr_read_b32 v3, a21
	v_addc_co_u32_e32 v41, vcc, v41, v3, vcc
	s_waitcnt lgkmcnt(0)
	v_cmp_lt_u64_e32 vcc, v[0:1], v[40:41]
	s_and_saveexec_b64 s[40:41], vcc
	s_cbranch_execz .LBB0_103
; %bb.95:                               ;   in Loop: Header=BB0_66 Depth=2
	s_mov_b32 s53, 0
	s_mov_b64 s[42:43], 0
                                        ; implicit-def: $sgpr44_sgpr45
                                        ; implicit-def: $sgpr46_sgpr47
	s_branch .LBB0_97
.LBB0_96:                               ;   in Loop: Header=BB0_97 Depth=3
	s_or_b64 exec, exec, s[50:51]
	s_and_b64 vcc, exec, vcc
	s_or_b64 s[42:43], vcc, s[42:43]
	s_andn2_b64 vcc, s[44:45], exec
	s_and_b64 s[44:45], s[46:47], exec
	s_or_b64 s[44:45], vcc, s[44:45]
	s_andn2_b64 exec, exec, s[42:43]
	s_cbranch_execz .LBB0_101
.LBB0_97:                               ;   Parent Loop BB0_21 Depth=1
                                        ;     Parent Loop BB0_66 Depth=2
                                        ; =>    This Inner Loop Header: Depth=3
	s_add_i32 s53, s53, 1
	s_cmpk_lg_i32 s53, 0x2710
	s_cselect_b64 s[48:49], -1, 0
	s_and_b64 vcc, exec, s[48:49]
                                        ; implicit-def: $sgpr50_sgpr51
	s_cbranch_vccnz .LBB0_99
; %bb.98:                               ;   in Loop: Header=BB0_97 Depth=3
	s_trap 2
	ds_read_b64 v[0:1], v0
	s_andn2_b64 s[48:49], s[48:49], exec
	s_mov_b32 s53, 0
	s_mov_b64 s[50:51], -1
	s_waitcnt lgkmcnt(0)
	flat_load_dword v0, v[0:1] glc
	s_waitcnt vmcnt(0) lgkmcnt(0)
	buffer_invl2
	buffer_wbinvl1_vol
	v_cmp_eq_u32_e32 vcc, 0, v0
	s_and_b64 vcc, vcc, exec
	s_or_b64 s[48:49], s[48:49], vcc
.LBB0_99:                               ;   in Loop: Header=BB0_97 Depth=3
	s_andn2_b64 s[46:47], s[46:47], exec
	s_and_b64 s[50:51], s[50:51], exec
	s_mov_b64 vcc, -1
	s_or_b64 s[46:47], s[46:47], s[50:51]
	s_and_saveexec_b64 s[50:51], s[48:49]
	s_cbranch_execz .LBB0_96
; %bb.100:                              ;   in Loop: Header=BB0_97 Depth=3
	s_sleep 1
	s_trap 2
	ds_read_b64 v[0:1], v0
	s_andn2_b64 s[46:47], s[46:47], exec
	s_waitcnt lgkmcnt(0)
	v_cmp_ge_u64_e32 vcc, v[0:1], v[40:41]
	s_orn2_b64 vcc, vcc, exec
	s_branch .LBB0_96
.LBB0_101:                              ;   in Loop: Header=BB0_66 Depth=2
	s_or_b64 exec, exec, s[42:43]
	s_and_saveexec_b64 vcc, s[44:45]
	s_xor_b64 vcc, exec, vcc
	s_cbranch_execz .LBB0_103
; %bb.102:                              ;   in Loop: Header=BB0_66 Depth=2
	v_mov_b32_e32 v0, 1
	ds_write_b32 v0, v0
	s_trap 2
.LBB0_103:                              ;   in Loop: Header=BB0_66 Depth=2
	s_or_b64 exec, exec, s[40:41]
	;;#ASMSTART
	s_wakeup
	;;#ASMEND
.LBB0_104:                              ;   in Loop: Header=BB0_66 Depth=2
	s_or_b64 exec, exec, s[38:39]
.LBB0_105:                              ;   in Loop: Header=BB0_66 Depth=2
	s_andn2_saveexec_b64 vcc, s[36:37]
	s_cbranch_execz .LBB0_107
; %bb.106:                              ;   in Loop: Header=BB0_66 Depth=2
	s_waitcnt vmcnt(0) lgkmcnt(0)
	buffer_wbinvl1_vol
	s_barrier
.LBB0_107:                              ;   in Loop: Header=BB0_66 Depth=2
	s_or_b64 exec, exec, vcc
	s_or_b64 exec, exec, s[18:19]
	v_mov_b32_e32 v0, v24
	s_and_saveexec_b64 s[36:37], s[16:17]
	s_cbranch_execz .LBB0_69
.LBB0_108:                              ;   in Loop: Header=BB0_66 Depth=2
	s_waitcnt vmcnt(0) lgkmcnt(0)
	v_ashrrev_i32_e32 v0, 31, v2
	v_mul_lo_u32 v3, v47, v2
	v_mul_lo_u32 v4, v46, v0
	v_mad_u64_u32 v[0:1], s[18:19], v46, v2, 0
	v_add3_u32 v1, v1, v4, v3
	v_lshlrev_b64 v[0:1], 3, v[0:1]
	v_add_co_u32_e32 v58, vcc, v56, v0
	v_and_b32_e32 v0, 7, v36
	v_mul_lo_u32 v0, v0, v62
	v_addc_co_u32_e32 v59, vcc, v57, v1, vcc
	v_ashrrev_i32_e32 v1, 31, v0
	v_lshlrev_b64 v[0:1], 4, v[0:1]
	v_accvgpr_read_b32 v2, a14
	v_add_co_u32_e32 v44, vcc, v2, v0
	v_and_b32_e32 v0, 7, v10
	v_accvgpr_read_b32 v3, a15
	v_mul_lo_u32 v0, v0, v62
	v_addc_co_u32_e32 v30, vcc, v3, v1, vcc
	v_ashrrev_i32_e32 v1, 31, v0
	v_lshlrev_b64 v[0:1], 4, v[0:1]
	v_add_co_u32_e32 v51, vcc, v38, v0
	v_addc_co_u32_e32 v8, vcc, v39, v1, vcc
	v_mov_b32_e32 v1, v10
	v_add_co_u32_e64 v9, vcc, 0, 0
	v_add_u32_e32 v50, 1, v36
	v_addc_co_u32_e32 v3, vcc, 1, v1, vcc
	s_mov_b64 s[38:39], 0
	v_mov_b32_e32 v35, v31
	v_mov_b32_e32 v25, v34
	;; [unrolled: 1-line block ×3, first 2 shown]
	s_branch .LBB0_112
.LBB0_109:                              ;   in Loop: Header=BB0_112 Depth=3
	s_or_b64 exec, exec, s[44:45]
.LBB0_110:                              ;   in Loop: Header=BB0_112 Depth=3
	s_or_b64 exec, exec, s[42:43]
.LBB0_111:                              ;   in Loop: Header=BB0_112 Depth=3
	s_or_b64 exec, exec, s[40:41]
	v_add_co_u32_e32 v58, vcc, v58, v28
	s_waitcnt vmcnt(0)
	v_mov_b32_e32 v17, v45
	v_addc_co_u32_e32 v59, vcc, v59, v29, vcc
	v_mad_u64_u32 v[16:17], s[18:19], v4, v26, v[16:17]
	v_mov_b32_e32 v2, v17
	v_add_co_u32_e32 v6, vcc, v51, v6
	v_mul_lo_u32 v1, v4, v27
	v_mad_u64_u32 v[4:5], s[18:19], v5, v26, v[2:3]
	v_addc_co_u32_e32 v7, vcc, v8, v7, vcc
	v_sub_u32_e32 v25, v25, v20
	v_add3_u32 v1, v1, v4, v18
	v_cmp_gt_i32_e32 vcc, 1, v25
	v_or_b32_e32 v2, v16, v9
	v_or_b32_e32 v4, v9, v1
	v_mov_b32_e32 v5, v3
	s_or_b64 s[38:39], vcc, s[38:39]
	v_add_u32_e32 v0, v0, v20
	global_store_dwordx4 v[6:7], v[2:5], off
	s_andn2_b64 exec, exec, s[38:39]
	s_cbranch_execz .LBB0_122
.LBB0_112:                              ;   Parent Loop BB0_21 Depth=1
                                        ;     Parent Loop BB0_66 Depth=2
                                        ; =>    This Loop Header: Depth=3
                                        ;         Child Loop BB0_116 Depth 4
	v_ashrrev_i32_e32 v1, 31, v0
	v_lshlrev_b64 v[6:7], 4, v[0:1]
	v_add_co_u32_e32 v42, vcc, v44, v6
	v_addc_co_u32_e32 v43, vcc, v30, v7, vcc
	global_load_dwordx2 v[4:5], v[58:59], off glc slc
	global_load_dwordx4 v[16:19], v[42:43], off glc slc
	v_cmp_eq_u32_e32 vcc, 0, v35
	s_and_saveexec_b64 s[40:41], vcc
	s_cbranch_execz .LBB0_111
; %bb.113:                              ;   in Loop: Header=BB0_112 Depth=3
	s_waitcnt vmcnt(0)
	v_cmp_ne_u32_e32 vcc, v50, v17
	v_cmp_ne_u32_e64 s[18:19], v50, v19
	s_or_b64 s[18:19], vcc, s[18:19]
	v_mov_b32_e32 v35, 0
	s_and_saveexec_b64 s[42:43], s[18:19]
	s_cbranch_execz .LBB0_110
; %bb.114:                              ;   in Loop: Header=BB0_112 Depth=3
	s_mov_b32 s48, 1
	s_mov_b64 s[44:45], 0
	v_mov_b32_e32 v35, 0
	s_branch .LBB0_116
.LBB0_115:                              ;   in Loop: Header=BB0_116 Depth=4
	s_or_b64 exec, exec, s[46:47]
	s_and_b64 s[18:19], exec, s[18:19]
	s_or_b64 s[44:45], s[18:19], s[44:45]
	s_andn2_b64 exec, exec, s[44:45]
	s_cbranch_execz .LBB0_109
.LBB0_116:                              ;   Parent Loop BB0_21 Depth=1
                                        ;     Parent Loop BB0_66 Depth=2
                                        ;       Parent Loop BB0_112 Depth=3
                                        ; =>      This Inner Loop Header: Depth=4
	global_load_dwordx4 v[16:19], v[42:43], off glc slc
	s_add_i32 s48, s48, 1
	s_cmpk_lg_i32 s48, 0x2710
	s_cbranch_scc1 .LBB0_120
; %bb.117:                              ;   in Loop: Header=BB0_116 Depth=4
	s_trap 2
	ds_read_b64 v[32:33], v0
	v_mov_b32_e32 v35, v31
	s_waitcnt vmcnt(0) lgkmcnt(0)
	flat_load_dword v1, v[32:33] glc
	s_waitcnt vmcnt(0) lgkmcnt(0)
	buffer_invl2
	buffer_wbinvl1_vol
	v_cmp_ne_u32_e32 vcc, 0, v1
	s_and_saveexec_b64 s[18:19], vcc
	s_cbranch_execz .LBB0_119
; %bb.118:                              ;   in Loop: Header=BB0_116 Depth=4
	v_or_b32_e32 v35, 1, v31
	v_mov_b32_e32 v31, 1
	ds_write_b32 v0, v1
	s_trap 2
.LBB0_119:                              ;   in Loop: Header=BB0_116 Depth=4
	s_or_b64 exec, exec, s[18:19]
	v_mov_b32_e32 v1, v31
	s_mov_b32 s48, 0
	v_mov_b32_e32 v31, v35
	v_cmp_eq_u32_e32 vcc, 0, v1
	s_mov_b64 s[18:19], -1
	s_and_saveexec_b64 s[46:47], vcc
	s_cbranch_execz .LBB0_115
	s_branch .LBB0_121
.LBB0_120:                              ;   in Loop: Header=BB0_116 Depth=4
	v_mov_b32_e32 v1, 0
	v_cmp_eq_u32_e32 vcc, 0, v1
	s_mov_b64 s[18:19], -1
	s_and_saveexec_b64 s[46:47], vcc
	s_cbranch_execz .LBB0_115
.LBB0_121:                              ;   in Loop: Header=BB0_116 Depth=4
	s_waitcnt vmcnt(0)
	v_cmp_eq_u32_e32 vcc, v50, v17
	v_cmp_eq_u32_e64 s[18:19], v50, v19
	s_and_b64 s[18:19], vcc, s[18:19]
	s_orn2_b64 s[18:19], s[18:19], exec
	s_branch .LBB0_115
.LBB0_122:                              ;   in Loop: Header=BB0_66 Depth=2
	s_or_b64 exec, exec, s[38:39]
	s_or_b64 exec, exec, s[36:37]
	s_and_saveexec_b64 s[18:19], s[10:11]
	s_cbranch_execz .LBB0_70
.LBB0_123:                              ;   in Loop: Header=BB0_66 Depth=2
	s_and_saveexec_b64 vcc, s[28:29]
	s_xor_b64 s[36:37], exec, vcc
	s_cbranch_execz .LBB0_138
; %bb.124:                              ;   in Loop: Header=BB0_66 Depth=2
	s_and_saveexec_b64 s[38:39], s[12:13]
	s_cbranch_execz .LBB0_137
; %bb.125:                              ;   in Loop: Header=BB0_66 Depth=2
	s_mov_b64 s[42:43], exec
	v_mbcnt_lo_u32_b32 v1, s42, 0
	v_mbcnt_hi_u32_b32 v1, s43, v1
	v_cmp_eq_u32_e32 vcc, 0, v1
	s_waitcnt vmcnt(0) lgkmcnt(0)
	buffer_wbinvl1_vol
	s_and_saveexec_b64 s[40:41], vcc
	s_cbranch_execz .LBB0_127
; %bb.126:                              ;   in Loop: Header=BB0_66 Depth=2
	s_bcnt1_i32_b64 vcc_lo, s[42:43]
	v_mov_b32_e32 v44, vcc_lo
	ds_add_u64 v0, v[44:45]
	s_trap 2
.LBB0_127:                              ;   in Loop: Header=BB0_66 Depth=2
	s_or_b64 exec, exec, s[40:41]
	s_trap 2
	ds_read_b64 v[2:3], v0
	v_accvgpr_read_b32 v4, a20
	v_add_co_u32_e32 v40, vcc, v40, v4
	v_accvgpr_read_b32 v1, a21
	v_addc_co_u32_e32 v41, vcc, v41, v1, vcc
	s_waitcnt lgkmcnt(0)
	v_cmp_lt_u64_e32 vcc, v[2:3], v[40:41]
	s_and_saveexec_b64 s[40:41], vcc
	s_cbranch_execz .LBB0_136
; %bb.128:                              ;   in Loop: Header=BB0_66 Depth=2
	s_mov_b32 s53, 0
	s_mov_b64 s[42:43], 0
                                        ; implicit-def: $sgpr44_sgpr45
                                        ; implicit-def: $sgpr46_sgpr47
	s_branch .LBB0_130
.LBB0_129:                              ;   in Loop: Header=BB0_130 Depth=3
	s_or_b64 exec, exec, s[50:51]
	s_and_b64 vcc, exec, vcc
	s_or_b64 s[42:43], vcc, s[42:43]
	s_andn2_b64 vcc, s[44:45], exec
	s_and_b64 s[44:45], s[46:47], exec
	s_or_b64 s[44:45], vcc, s[44:45]
	s_andn2_b64 exec, exec, s[42:43]
	s_cbranch_execz .LBB0_134
.LBB0_130:                              ;   Parent Loop BB0_21 Depth=1
                                        ;     Parent Loop BB0_66 Depth=2
                                        ; =>    This Inner Loop Header: Depth=3
	s_add_i32 s53, s53, 1
	s_cmpk_lg_i32 s53, 0x2710
	s_cselect_b64 s[48:49], -1, 0
	s_and_b64 vcc, exec, s[48:49]
                                        ; implicit-def: $sgpr50_sgpr51
	s_cbranch_vccnz .LBB0_132
; %bb.131:                              ;   in Loop: Header=BB0_130 Depth=3
	s_trap 2
	ds_read_b64 v[2:3], v0
	s_andn2_b64 s[48:49], s[48:49], exec
	s_mov_b32 s53, 0
	s_mov_b64 s[50:51], -1
	s_waitcnt lgkmcnt(0)
	flat_load_dword v1, v[2:3] glc
	s_waitcnt vmcnt(0) lgkmcnt(0)
	buffer_invl2
	buffer_wbinvl1_vol
	v_cmp_eq_u32_e32 vcc, 0, v1
	s_and_b64 vcc, vcc, exec
	s_or_b64 s[48:49], s[48:49], vcc
.LBB0_132:                              ;   in Loop: Header=BB0_130 Depth=3
	s_andn2_b64 s[46:47], s[46:47], exec
	s_and_b64 s[50:51], s[50:51], exec
	s_mov_b64 vcc, -1
	s_or_b64 s[46:47], s[46:47], s[50:51]
	s_and_saveexec_b64 s[50:51], s[48:49]
	s_cbranch_execz .LBB0_129
; %bb.133:                              ;   in Loop: Header=BB0_130 Depth=3
	s_sleep 1
	s_trap 2
	ds_read_b64 v[2:3], v0
	s_andn2_b64 s[46:47], s[46:47], exec
	s_waitcnt lgkmcnt(0)
	v_cmp_ge_u64_e32 vcc, v[2:3], v[40:41]
	s_orn2_b64 vcc, vcc, exec
	s_branch .LBB0_129
.LBB0_134:                              ;   in Loop: Header=BB0_66 Depth=2
	s_or_b64 exec, exec, s[42:43]
	s_and_saveexec_b64 vcc, s[44:45]
	s_xor_b64 vcc, exec, vcc
	s_cbranch_execz .LBB0_136
; %bb.135:                              ;   in Loop: Header=BB0_66 Depth=2
	v_mov_b32_e32 v1, 1
	ds_write_b32 v0, v1
	s_trap 2
.LBB0_136:                              ;   in Loop: Header=BB0_66 Depth=2
	s_or_b64 exec, exec, s[40:41]
	;;#ASMSTART
	s_wakeup
	;;#ASMEND
.LBB0_137:                              ;   in Loop: Header=BB0_66 Depth=2
	s_or_b64 exec, exec, s[38:39]
.LBB0_138:                              ;   in Loop: Header=BB0_66 Depth=2
	s_andn2_saveexec_b64 vcc, s[36:37]
	s_cbranch_execz .LBB0_140
; %bb.139:                              ;   in Loop: Header=BB0_66 Depth=2
	s_waitcnt vmcnt(0) lgkmcnt(0)
	buffer_wbinvl1_vol
	s_barrier
.LBB0_140:                              ;   in Loop: Header=BB0_66 Depth=2
	s_or_b64 exec, exec, vcc
	s_or_b64 exec, exec, s[18:19]
	s_and_saveexec_b64 s[18:19], s[14:15]
	s_cbranch_execnz .LBB0_71
	s_branch .LBB0_72
.LBB0_141:                              ;   in Loop: Header=BB0_21 Depth=1
	v_pk_mov_b32 v[16:17], v[10:11], v[10:11] op_sel:[0,1]
	s_and_saveexec_b64 s[18:19], s[16:17]
	s_cbranch_execnz .LBB0_143
	s_branch .LBB0_162
.LBB0_142:                              ;   in Loop: Header=BB0_21 Depth=1
	v_accvgpr_read_b32 v59, a3
	v_accvgpr_read_b32 v33, a7
	;; [unrolled: 1-line block ×5, first 2 shown]
	v_pk_mov_b32 v[16:17], v[10:11], v[10:11] op_sel:[0,1]
	v_accvgpr_read_b32 v58, a2
	v_accvgpr_read_b32 v32, a6
	;; [unrolled: 1-line block ×6, first 2 shown]
	s_and_saveexec_b64 s[18:19], s[16:17]
	s_cbranch_execz .LBB0_162
.LBB0_143:                              ;   in Loop: Header=BB0_21 Depth=1
	flat_load_dword v4, v[22:23]
	s_waitcnt vmcnt(0) lgkmcnt(0)
	v_accvgpr_read_b32 v2, a8
	v_accvgpr_read_b32 v3, a9
	v_add_co_u32_e32 v5, vcc, v2, v8
	v_and_b32_e32 v2, 7, v36
	v_addc_co_u32_e32 v6, vcc, v3, v9, vcc
	v_accvgpr_read_b32 v0, a26
	v_mul_lo_u32 v2, v2, v62
	v_add_co_u32_e32 v0, vcc, v0, v8
	v_accvgpr_read_b32 v1, a27
	v_ashrrev_i32_e32 v3, 31, v2
	v_addc_co_u32_e32 v1, vcc, v1, v9, vcc
	v_lshlrev_b64 v[2:3], 4, v[2:3]
	v_accvgpr_read_b32 v8, a14
	v_accvgpr_read_b32 v9, a15
	v_add_co_u32_e32 v44, vcc, v8, v2
	v_addc_co_u32_e32 v56, vcc, v9, v3, vcc
	v_accvgpr_write_b32 a30, v42
	v_accvgpr_write_b32 a31, v43
	v_add_u32_e32 v21, 1, v36
	s_mov_b64 s[36:37], 0
	v_mov_b32_e32 v18, v24
	v_ashrrev_i32_e32 v7, 31, v4
	v_mul_lo_u32 v8, v47, v4
	v_mad_u64_u32 v[2:3], s[16:17], v46, v4, 0
	v_mul_lo_u32 v4, v46, v7
	v_add3_u32 v3, v3, v4, v8
	v_lshlrev_b64 v[2:3], 3, v[2:3]
	v_add_co_u32_e32 v2, vcc, v5, v2
	v_addc_co_u32_e32 v3, vcc, v6, v3, vcc
	v_accvgpr_read_b32 v4, a22
	v_accvgpr_read_b32 v5, a23
	v_add_co_u32_e32 v10, vcc, v2, v4
	v_addc_co_u32_e32 v11, vcc, v3, v5, vcc
	s_branch .LBB0_145
.LBB0_144:                              ;   in Loop: Header=BB0_145 Depth=2
	v_add_co_u32_e32 v10, vcc, v10, v28
	v_addc_co_u32_e32 v11, vcc, v11, v29, vcc
	v_add_co_u32_e32 v0, vcc, v0, v28
	v_addc_co_u32_e32 v1, vcc, v1, v29, vcc
	v_sub_u32_e32 v34, v34, v20
	v_cmp_gt_i32_e32 vcc, 1, v34
	s_or_b64 s[36:37], vcc, s[36:37]
	v_add_u32_e32 v18, v18, v20
	s_andn2_b64 exec, exec, s[36:37]
	s_cbranch_execz .LBB0_161
.LBB0_145:                              ;   Parent Loop BB0_21 Depth=1
                                        ; =>  This Loop Header: Depth=2
                                        ;       Child Loop BB0_149 Depth 3
	v_ashrrev_i32_e32 v19, 31, v18
	v_lshlrev_b64 v[2:3], 4, v[18:19]
	v_add_co_u32_e32 v42, vcc, v44, v2
	v_addc_co_u32_e32 v43, vcc, v56, v3, vcc
	global_load_dwordx2 v[6:7], v[10:11], off glc slc
	global_load_dwordx4 v[2:5], v[42:43], off glc slc
	v_cmp_eq_u32_e32 vcc, 0, v31
	s_and_saveexec_b64 s[38:39], vcc
	s_cbranch_execz .LBB0_157
; %bb.146:                              ;   in Loop: Header=BB0_145 Depth=2
	s_waitcnt vmcnt(0)
	v_cmp_ne_u32_e32 vcc, v21, v3
	v_cmp_ne_u32_e64 s[16:17], v21, v5
	s_or_b64 s[16:17], vcc, s[16:17]
	v_mov_b32_e32 v31, 0
	s_and_saveexec_b64 s[40:41], s[16:17]
	s_cbranch_execz .LBB0_156
; %bb.147:                              ;   in Loop: Header=BB0_145 Depth=2
	s_mov_b32 s46, 1
	s_mov_b64 s[42:43], 0
	v_mov_b32_e32 v31, 0
	s_branch .LBB0_149
.LBB0_148:                              ;   in Loop: Header=BB0_149 Depth=3
	s_or_b64 exec, exec, s[44:45]
	s_and_b64 s[16:17], exec, s[16:17]
	s_or_b64 s[42:43], s[16:17], s[42:43]
	s_andn2_b64 exec, exec, s[42:43]
	s_cbranch_execz .LBB0_155
.LBB0_149:                              ;   Parent Loop BB0_21 Depth=1
                                        ;     Parent Loop BB0_145 Depth=2
                                        ; =>    This Inner Loop Header: Depth=3
	global_load_dwordx4 v[2:5], v[42:43], off glc slc
	s_add_i32 s46, s46, 1
	s_cmpk_lg_i32 s46, 0x2710
	s_cbranch_scc1 .LBB0_153
; %bb.150:                              ;   in Loop: Header=BB0_149 Depth=3
	s_trap 2
	ds_read_b64 v[8:9], v0
	s_waitcnt vmcnt(0) lgkmcnt(0)
	flat_load_dword v8, v[8:9] glc
	s_waitcnt vmcnt(0) lgkmcnt(0)
	buffer_invl2
	buffer_wbinvl1_vol
	v_cmp_ne_u32_e32 vcc, 0, v8
	s_and_saveexec_b64 s[16:17], vcc
	s_cbranch_execz .LBB0_152
; %bb.151:                              ;   in Loop: Header=BB0_149 Depth=3
	v_mov_b32_e32 v31, 1
	ds_write_b32 v0, v8
	s_trap 2
.LBB0_152:                              ;   in Loop: Header=BB0_149 Depth=3
	s_or_b64 exec, exec, s[16:17]
	s_mov_b32 s46, 0
	v_mov_b32_e32 v8, v31
	v_cmp_eq_u32_e32 vcc, 0, v8
	s_mov_b64 s[16:17], -1
	s_and_saveexec_b64 s[44:45], vcc
	s_cbranch_execz .LBB0_148
	s_branch .LBB0_154
.LBB0_153:                              ;   in Loop: Header=BB0_149 Depth=3
	v_mov_b32_e32 v8, 0
	v_cmp_eq_u32_e32 vcc, 0, v8
	s_mov_b64 s[16:17], -1
	s_and_saveexec_b64 s[44:45], vcc
	s_cbranch_execz .LBB0_148
.LBB0_154:                              ;   in Loop: Header=BB0_149 Depth=3
	s_waitcnt vmcnt(0)
	v_cmp_eq_u32_e32 vcc, v21, v3
	v_cmp_eq_u32_e64 s[16:17], v21, v5
	s_and_b64 s[16:17], vcc, s[16:17]
	s_orn2_b64 s[16:17], s[16:17], exec
	s_branch .LBB0_148
.LBB0_155:                              ;   in Loop: Header=BB0_145 Depth=2
	s_or_b64 exec, exec, s[42:43]
.LBB0_156:                              ;   in Loop: Header=BB0_145 Depth=2
	s_or_b64 exec, exec, s[40:41]
.LBB0_157:                              ;   in Loop: Header=BB0_145 Depth=2
	s_or_b64 exec, exec, s[38:39]
	s_waitcnt vmcnt(0)
	v_mov_b32_e32 v3, v45
	v_mov_b32_e32 v5, v4
	v_mul_lo_u32 v4, v6, v27
	v_mul_lo_u32 v7, v7, v26
	v_mad_u64_u32 v[2:3], s[16:17], v6, v26, v[2:3]
	v_add3_u32 v3, v7, v3, v4
	v_add_co_u32_e32 v2, vcc, 0, v2
	v_addc_co_u32_e32 v3, vcc, v3, v5, vcc
	v_mov_b32_e32 v4, v30
	;;#ASMSTART
	;;#ASMEND
	v_cmp_ne_u32_e32 vcc, 0, v4
	s_cmp_lg_u64 vcc, exec
	s_mov_b64 s[16:17], -1
	s_cbranch_scc0 .LBB0_159
; %bb.158:                              ;   in Loop: Header=BB0_145 Depth=2
	flat_store_dwordx2 v[0:1], v[2:3]
	s_mov_b64 s[16:17], 0
.LBB0_159:                              ;   in Loop: Header=BB0_145 Depth=2
	s_andn2_b64 vcc, exec, s[16:17]
	s_cbranch_vccnz .LBB0_144
; %bb.160:                              ;   in Loop: Header=BB0_145 Depth=2
	global_store_dwordx2 v[0:1], v[2:3], off
	s_branch .LBB0_144
.LBB0_161:                              ;   in Loop: Header=BB0_21 Depth=1
	s_or_b64 exec, exec, s[36:37]
	v_accvgpr_read_b32 v59, a3
	v_accvgpr_read_b32 v33, a7
	v_accvgpr_read_b32 v43, a31
	v_accvgpr_read_b32 v58, a2
	v_accvgpr_read_b32 v32, a6
	v_accvgpr_read_b32 v42, a30
.LBB0_162:                              ;   in Loop: Header=BB0_21 Depth=1
	s_or_b64 exec, exec, s[18:19]
	s_and_saveexec_b64 s[16:17], s[10:11]
	s_cbranch_execnz .LBB0_164
; %bb.163:                              ;   in Loop: Header=BB0_21 Depth=1
	s_or_b64 exec, exec, s[16:17]
	s_and_saveexec_b64 s[16:17], s[14:15]
	s_cbranch_execz .LBB0_20
	s_branch .LBB0_182
.LBB0_164:                              ;   in Loop: Header=BB0_21 Depth=1
	s_and_saveexec_b64 s[18:19], s[28:29]
	s_xor_b64 s[18:19], exec, s[18:19]
	s_cbranch_execz .LBB0_179
; %bb.165:                              ;   in Loop: Header=BB0_21 Depth=1
	s_and_saveexec_b64 s[36:37], s[12:13]
	s_cbranch_execz .LBB0_178
; %bb.166:                              ;   in Loop: Header=BB0_21 Depth=1
	s_mov_b64 s[40:41], exec
	v_mbcnt_lo_u32_b32 v0, s40, 0
	v_mbcnt_hi_u32_b32 v0, s41, v0
	v_cmp_eq_u32_e32 vcc, 0, v0
	s_waitcnt vmcnt(0) lgkmcnt(0)
	buffer_wbinvl1_vol
	s_and_saveexec_b64 s[38:39], vcc
	s_cbranch_execz .LBB0_168
; %bb.167:                              ;   in Loop: Header=BB0_21 Depth=1
	s_bcnt1_i32_b64 vcc_lo, s[40:41]
	v_mov_b32_e32 v44, vcc_lo
	ds_add_u64 v0, v[44:45]
	s_trap 2
.LBB0_168:                              ;   in Loop: Header=BB0_21 Depth=1
	s_or_b64 exec, exec, s[38:39]
	s_trap 2
	ds_read_b64 v[0:1], v0
	v_accvgpr_read_b32 v2, a20
	v_add_co_u32_e32 v40, vcc, v40, v2
	v_accvgpr_read_b32 v3, a21
	v_addc_co_u32_e32 v41, vcc, v41, v3, vcc
	s_waitcnt lgkmcnt(0)
	v_cmp_lt_u64_e32 vcc, v[0:1], v[40:41]
	s_and_saveexec_b64 s[38:39], vcc
	s_cbranch_execz .LBB0_177
; %bb.169:                              ;   in Loop: Header=BB0_21 Depth=1
	s_mov_b32 s50, 0
	s_mov_b64 s[40:41], 0
                                        ; implicit-def: $sgpr42_sgpr43
                                        ; implicit-def: $sgpr44_sgpr45
	s_branch .LBB0_171
.LBB0_170:                              ;   in Loop: Header=BB0_171 Depth=2
	s_or_b64 exec, exec, s[48:49]
	s_and_b64 vcc, exec, vcc
	s_or_b64 s[40:41], vcc, s[40:41]
	s_andn2_b64 vcc, s[42:43], exec
	s_and_b64 s[42:43], s[44:45], exec
	s_or_b64 s[42:43], vcc, s[42:43]
	s_andn2_b64 exec, exec, s[40:41]
	s_cbranch_execz .LBB0_175
.LBB0_171:                              ;   Parent Loop BB0_21 Depth=1
                                        ; =>  This Inner Loop Header: Depth=2
	s_add_i32 s50, s50, 1
	s_cmpk_lg_i32 s50, 0x2710
	s_cselect_b64 s[46:47], -1, 0
	s_and_b64 vcc, exec, s[46:47]
                                        ; implicit-def: $sgpr48_sgpr49
	s_cbranch_vccnz .LBB0_173
; %bb.172:                              ;   in Loop: Header=BB0_171 Depth=2
	s_trap 2
	ds_read_b64 v[0:1], v0
	s_andn2_b64 s[46:47], s[46:47], exec
	s_mov_b32 s50, 0
	s_mov_b64 s[48:49], -1
	s_waitcnt lgkmcnt(0)
	flat_load_dword v0, v[0:1] glc
	s_waitcnt vmcnt(0) lgkmcnt(0)
	buffer_invl2
	buffer_wbinvl1_vol
	v_cmp_eq_u32_e32 vcc, 0, v0
	s_and_b64 vcc, vcc, exec
	s_or_b64 s[46:47], s[46:47], vcc
.LBB0_173:                              ;   in Loop: Header=BB0_171 Depth=2
	s_andn2_b64 s[44:45], s[44:45], exec
	s_and_b64 s[48:49], s[48:49], exec
	s_mov_b64 vcc, -1
	s_or_b64 s[44:45], s[44:45], s[48:49]
	s_and_saveexec_b64 s[48:49], s[46:47]
	s_cbranch_execz .LBB0_170
; %bb.174:                              ;   in Loop: Header=BB0_171 Depth=2
	s_sleep 1
	s_trap 2
	ds_read_b64 v[0:1], v0
	s_andn2_b64 s[44:45], s[44:45], exec
	s_waitcnt lgkmcnt(0)
	v_cmp_ge_u64_e32 vcc, v[0:1], v[40:41]
	s_orn2_b64 vcc, vcc, exec
	s_branch .LBB0_170
.LBB0_175:                              ;   in Loop: Header=BB0_21 Depth=1
	s_or_b64 exec, exec, s[40:41]
	s_and_saveexec_b64 vcc, s[42:43]
	s_xor_b64 vcc, exec, vcc
	s_cbranch_execz .LBB0_177
; %bb.176:                              ;   in Loop: Header=BB0_21 Depth=1
	v_mov_b32_e32 v0, 1
	ds_write_b32 v0, v0
	s_trap 2
.LBB0_177:                              ;   in Loop: Header=BB0_21 Depth=1
	s_or_b64 exec, exec, s[38:39]
	;;#ASMSTART
	s_wakeup
	;;#ASMEND
.LBB0_178:                              ;   in Loop: Header=BB0_21 Depth=1
	s_or_b64 exec, exec, s[36:37]
.LBB0_179:                              ;   in Loop: Header=BB0_21 Depth=1
	s_andn2_saveexec_b64 s[18:19], s[18:19]
	s_cbranch_execz .LBB0_181
; %bb.180:                              ;   in Loop: Header=BB0_21 Depth=1
	s_waitcnt vmcnt(0) lgkmcnt(0)
	buffer_wbinvl1_vol
	s_barrier
.LBB0_181:                              ;   in Loop: Header=BB0_21 Depth=1
	s_or_b64 exec, exec, s[18:19]
	s_or_b64 exec, exec, s[16:17]
	s_and_saveexec_b64 s[16:17], s[14:15]
	s_cbranch_execz .LBB0_20
.LBB0_182:                              ;   in Loop: Header=BB0_21 Depth=1
	v_add_co_u32_e32 v48, vcc, 1, v48
	v_accvgpr_read_b32 v0, a16
	v_addc_co_u32_e32 v49, vcc, 0, v49, vcc
	v_accvgpr_read_b32 v1, a17
	flat_store_dwordx2 v[0:1], v[48:49]
	s_branch .LBB0_20
.LBB0_183:
	s_or_b64 exec, exec, s[26:27]
	v_accvgpr_read_b32 v19, a11
	v_accvgpr_read_b32 v29, a13
	;; [unrolled: 1-line block ×6, first 2 shown]
.LBB0_184:
	s_or_b64 exec, exec, s[24:25]
; %bb.185:
	s_and_saveexec_b64 s[6:7], s[22:23]
	s_cbranch_execnz .LBB0_188
; %bb.186:
	s_or_b64 exec, exec, s[6:7]
	s_and_saveexec_b64 s[6:7], s[4:5]
	s_cbranch_execnz .LBB0_189
.LBB0_187:
	s_or_b64 exec, exec, s[6:7]
	v_cmp_ne_u32_e32 vcc, 64, v20
	s_and_saveexec_b64 s[4:5], vcc
	s_cbranch_execnz .LBB0_190
	s_branch .LBB0_207
.LBB0_188:
	s_waitcnt vmcnt(0) lgkmcnt(0)
	flat_store_dwordx2 v[28:29], v[48:49] offset:104
	s_or_b64 exec, exec, s[6:7]
	s_and_saveexec_b64 s[6:7], s[4:5]
	s_cbranch_execz .LBB0_187
.LBB0_189:
	s_waitcnt vmcnt(0) lgkmcnt(0)
	flat_store_dwordx2 v[18:19], v[14:15] offset:104
	s_or_b64 exec, exec, s[6:7]
	v_cmp_ne_u32_e32 vcc, 64, v20
	s_and_saveexec_b64 s[4:5], vcc
	s_cbranch_execz .LBB0_207
.LBB0_190:
	v_cmp_ne_u32_sdwa s[6:7], v11, v20 src0_sel:WORD_0 src1_sel:DWORD
	s_and_saveexec_b64 s[8:9], s[6:7]
	s_xor_b64 s[6:7], exec, s[8:9]
	s_cbranch_execz .LBB0_205
; %bb.191:
	v_and_b32_e32 v0, 63, v31
	v_cmp_eq_u32_e32 vcc, 0, v0
	s_and_saveexec_b64 s[8:9], vcc
	s_cbranch_execz .LBB0_204
; %bb.192:
	s_mov_b64 s[12:13], exec
	v_mbcnt_lo_u32_b32 v0, s12, 0
	v_mbcnt_hi_u32_b32 v0, s13, v0
	v_cmp_eq_u32_e32 vcc, 0, v0
	s_waitcnt vmcnt(0) lgkmcnt(0)
	buffer_wbinvl1_vol
	s_and_saveexec_b64 s[10:11], vcc
	s_cbranch_execz .LBB0_194
; %bb.193:
	s_bcnt1_i32_b64 s12, s[12:13]
	v_mov_b32_e32 v0, s12
	v_mov_b32_e32 v1, 0
	ds_add_u64 v0, v[0:1]
	s_trap 2
.LBB0_194:
	s_or_b64 exec, exec, s[10:11]
	v_ashrrev_i32_e32 v0, 31, v20
	v_lshrrev_b32_e32 v0, 26, v0
	v_add_u32_e32 v0, v20, v0
	v_ashrrev_i32_e32 v0, 6, v0
	s_trap 2
	ds_read_b64 v[2:3], v0
	v_ashrrev_i32_e32 v1, 31, v0
	v_add_co_u32_e32 v0, vcc, v40, v0
	v_addc_co_u32_e32 v1, vcc, v41, v1, vcc
	s_waitcnt lgkmcnt(0)
	v_cmp_lt_u64_e32 vcc, v[2:3], v[0:1]
	s_and_saveexec_b64 s[10:11], vcc
	s_cbranch_execz .LBB0_203
; %bb.195:
	s_mov_b32 s24, 0
	s_mov_b64 s[12:13], 0
                                        ; implicit-def: $sgpr14_sgpr15
                                        ; implicit-def: $sgpr16_sgpr17
	s_branch .LBB0_197
.LBB0_196:                              ;   in Loop: Header=BB0_197 Depth=1
	s_or_b64 exec, exec, s[22:23]
	s_and_b64 s[18:19], exec, s[20:21]
	s_or_b64 s[12:13], s[18:19], s[12:13]
	s_andn2_b64 s[14:15], s[14:15], exec
	s_and_b64 s[18:19], s[16:17], exec
	s_or_b64 s[14:15], s[14:15], s[18:19]
	s_andn2_b64 exec, exec, s[12:13]
	s_cbranch_execz .LBB0_201
.LBB0_197:                              ; =>This Inner Loop Header: Depth=1
	s_add_i32 s24, s24, 1
	s_cmpk_lg_i32 s24, 0x2710
	s_cselect_b64 s[18:19], -1, 0
	s_and_b64 vcc, exec, s[18:19]
                                        ; implicit-def: $sgpr22_sgpr23
	s_cbranch_vccnz .LBB0_199
; %bb.198:                              ;   in Loop: Header=BB0_197 Depth=1
	s_trap 2
	ds_read_b64 v[2:3], v0
	s_andn2_b64 s[18:19], s[18:19], exec
	s_mov_b32 s24, 0
	s_mov_b64 s[22:23], -1
	s_waitcnt lgkmcnt(0)
	flat_load_dword v2, v[2:3] glc
	s_waitcnt vmcnt(0) lgkmcnt(0)
	buffer_invl2
	buffer_wbinvl1_vol
	v_cmp_eq_u32_e32 vcc, 0, v2
	s_and_b64 s[20:21], vcc, exec
	s_or_b64 s[18:19], s[18:19], s[20:21]
.LBB0_199:                              ;   in Loop: Header=BB0_197 Depth=1
	s_andn2_b64 s[16:17], s[16:17], exec
	s_and_b64 s[22:23], s[22:23], exec
	s_mov_b64 s[20:21], -1
	s_or_b64 s[16:17], s[16:17], s[22:23]
	s_and_saveexec_b64 s[22:23], s[18:19]
	s_cbranch_execz .LBB0_196
; %bb.200:                              ;   in Loop: Header=BB0_197 Depth=1
	s_sleep 1
	s_trap 2
	ds_read_b64 v[2:3], v0
	s_andn2_b64 s[16:17], s[16:17], exec
	s_waitcnt lgkmcnt(0)
	v_cmp_ge_u64_e32 vcc, v[2:3], v[0:1]
	s_orn2_b64 s[20:21], vcc, exec
	s_branch .LBB0_196
.LBB0_201:
	s_or_b64 exec, exec, s[12:13]
	s_and_saveexec_b64 s[12:13], s[14:15]
	s_xor_b64 s[12:13], exec, s[12:13]
	s_cbranch_execz .LBB0_203
; %bb.202:
	v_mov_b32_e32 v0, 1
	ds_write_b32 v0, v0
	s_trap 2
.LBB0_203:
	s_or_b64 exec, exec, s[10:11]
	;;#ASMSTART
	s_wakeup
	;;#ASMEND
.LBB0_204:
	s_or_b64 exec, exec, s[8:9]
.LBB0_205:
	s_andn2_saveexec_b64 s[6:7], s[6:7]
	s_cbranch_execz .LBB0_207
; %bb.206:
	s_waitcnt vmcnt(0) lgkmcnt(0)
	buffer_wbinvl1_vol
	s_barrier
.LBB0_207:
	s_or_b64 exec, exec, s[4:5]
	buffer_load_dword a41, off, s[0:3], s32 ; 4-byte Folded Reload
	buffer_load_dword a40, off, s[0:3], s32 offset:4 ; 4-byte Folded Reload
	buffer_load_dword a38, off, s[0:3], s32 offset:8 ; 4-byte Folded Reload
	;; [unrolled: 1-line block ×23, first 2 shown]
	v_readlane_b32 s30, v63, 20
	v_readlane_b32 s31, v63, 21
	;; [unrolled: 1-line block ×22, first 2 shown]
	s_or_saveexec_b64 s[4:5], -1
	buffer_load_dword v63, off, s[0:3], s32 offset:96 ; 4-byte Folded Reload
	s_mov_b64 exec, s[4:5]
	s_waitcnt vmcnt(0) lgkmcnt(0)
	s_setpc_b64 s[30:31]
.Lfunc_end0:
	.size	_ZN12_GLOBAL__N_17runRingIm13FuncPreMulSumImE7ProtoLLLi0ELi1ELi0EEEviiP15ncclDevWorkColl, .Lfunc_end0-_ZN12_GLOBAL__N_17runRingIm13FuncPreMulSumImE7ProtoLLLi0ELi1ELi0EEEviiP15ncclDevWorkColl
                                        ; -- End function
	.section	.AMDGPU.csdata,"",@progbits
; Function info:
; codeLenInByte = 7800
; NumSgprs: 58
; NumVgprs: 64
; NumAgprs: 42
; TotalNumVgprs: 106
; ScratchSize: 104
; MemoryBound: 0
	.text
	.p2align	2                               ; -- Begin function _Z53ncclDevFunc_ReduceScatter_RING_LL_PreMulSum_u64_0_0_1v
	.type	_Z53ncclDevFunc_ReduceScatter_RING_LL_PreMulSum_u64_0_0_1v,@function
_Z53ncclDevFunc_ReduceScatter_RING_LL_PreMulSum_u64_0_0_1v: ; @_Z53ncclDevFunc_ReduceScatter_RING_LL_PreMulSum_u64_0_0_1v
; %bb.0:
	s_waitcnt vmcnt(0) expcnt(0) lgkmcnt(0)
	s_mov_b32 s4, s33
	s_mov_b32 s33, s32
	s_or_saveexec_b64 s[6:7], -1
	buffer_store_dword v43, off, s[0:3], s33 offset:16 ; 4-byte Folded Spill
	s_mov_b64 exec, s[6:7]
	v_writelane_b32 v43, s4, 30
	s_addk_i32 s32, 0x800
	buffer_store_dword v40, off, s[0:3], s33 offset:12 ; 4-byte Folded Spill
	buffer_store_dword v41, off, s[0:3], s33 offset:8 ; 4-byte Folded Spill
	;; [unrolled: 1-line block ×3, first 2 shown]
	buffer_store_dword v63, off, s[0:3], s33 ; 4-byte Folded Spill
	v_writelane_b32 v43, s34, 0
	v_writelane_b32 v43, s35, 1
	;; [unrolled: 1-line block ×30, first 2 shown]
	s_trap 2
	ds_read_b32 v0, v0
	v_mov_b32_e32 v40, v31
	v_and_b32_e32 v41, 0x3ff, v40
	s_mov_b32 s56, s12
	s_mov_b64 s[54:55], s[8:9]
	s_waitcnt lgkmcnt(0)
	v_cmp_lt_i32_e32 vcc, v41, v0
	s_and_saveexec_b64 s[4:5], vcc
	s_cbranch_execz .LBB1_5
; %bb.1:
	s_load_dword s6, s[54:55], 0x0
	v_mov_b32_e32 v1, 0
	v_mov_b32_e32 v4, v41
                                        ; implicit-def: $vgpr2
	s_waitcnt lgkmcnt(0)
	s_cmp_lt_u32 s56, s6
	s_cselect_b32 s6, 12, 18
	s_add_u32 s6, s54, s6
	s_addc_u32 s7, s55, 0
	global_load_ushort v1, v1, s[6:7]
	s_trap 2
	ds_read_b32 v3, v0
	s_mov_b64 s[6:7], 0
	s_waitcnt vmcnt(0) lgkmcnt(0)
	v_mul_lo_u32 v3, v3, v1
	s_branch .LBB1_3
.LBB1_2:                                ;   in Loop: Header=BB1_3 Depth=1
	s_or_b64 exec, exec, s[8:9]
	v_add_u32_e32 v4, v4, v1
	v_cmp_ge_i32_e32 vcc, v4, v0
	s_or_b64 s[6:7], vcc, s[6:7]
	v_add_u32_e32 v2, v2, v3
	s_andn2_b64 exec, exec, s[6:7]
	s_cbranch_execz .LBB1_5
.LBB1_3:                                ; =>This Inner Loop Header: Depth=1
	ds_read_b32 v5, v2
	s_waitcnt lgkmcnt(0)
	v_and_b32_e32 v5, 0x1000000, v5
	v_cmp_ne_u32_e32 vcc, 0, v5
	s_and_saveexec_b64 s[8:9], vcc
	s_cbranch_execz .LBB1_2
; %bb.4:                                ;   in Loop: Header=BB1_3 Depth=1
	ds_read_b64 v[6:7], v2 offset:104
	s_waitcnt lgkmcnt(0)
	flat_load_dwordx2 v[6:7], v[6:7]
	s_waitcnt vmcnt(0) lgkmcnt(0)
	ds_write_b64 v2, v[6:7] offset:104
	s_branch .LBB1_2
.LBB1_5:
	s_or_b64 exec, exec, s[4:5]
	s_waitcnt lgkmcnt(0)
	s_barrier
	s_trap 2
	ds_read_b32 v0, v0
	s_waitcnt lgkmcnt(0)
	v_cmp_gt_i32_e32 vcc, 1, v0
	s_cbranch_vccnz .LBB1_13
; %bb.6:
	s_mov_b32 s57, 0
	s_mov_b64 s[58:59], src_shared_base
	v_mov_b32_e32 v42, 6
	s_branch .LBB1_8
.LBB1_7:                                ;   in Loop: Header=BB1_8 Depth=1
	s_or_b64 exec, exec, s[60:61]
	s_trap 2
	ds_read_b32 v0, v0
	s_add_i32 s57, s57, 1
	s_waitcnt lgkmcnt(0)
	v_cmp_lt_i32_e32 vcc, s57, v0
	s_cbranch_vccz .LBB1_13
.LBB1_8:                                ; =>This Inner Loop Header: Depth=1
	s_trap 2
	ds_read_b32 v0, v0
	s_cmp_eq_u32 s57, 0
	s_cbranch_scc1 .LBB1_11
; %bb.9:                                ;   in Loop: Header=BB1_8 Depth=1
	s_trap 2
	s_waitcnt lgkmcnt(0)
	ds_read_b32 v1, v0
	s_waitcnt lgkmcnt(0)
	v_xor_b32_e32 v1, v1, v0
	v_and_b32_e32 v1, 0xff0000, v1
	v_cmp_eq_u32_e32 vcc, 0, v1
	s_cbranch_vccnz .LBB1_11
; %bb.10:                               ;   in Loop: Header=BB1_8 Depth=1
	s_barrier
	ds_read_b32 v0, v0
.LBB1_11:                               ;   in Loop: Header=BB1_8 Depth=1
	s_waitcnt lgkmcnt(0)
	v_lshlrev_b32_sdwa v1, v42, v0 dst_sel:DWORD dst_unused:UNUSED_PAD src0_sel:DWORD src1_sel:BYTE_2
	v_cmp_lt_u32_e32 vcc, v41, v1
	s_and_saveexec_b64 s[60:61], vcc
	s_cbranch_execz .LBB1_7
; %bb.12:                               ;   in Loop: Header=BB1_8 Depth=1
	s_mov_b64 s[8:9], s[54:55]
	s_mov_b32 s12, s56
	v_mov_b32_e32 v31, v40
	v_mov_b32_e32 v0, v41
	;; [unrolled: 1-line block ×3, first 2 shown]
	s_getpc_b64 s[4:5]
	s_add_u32 s4, s4, _ZN12_GLOBAL__N_17runRingIm13FuncPreMulSumImE7ProtoLLLi0ELi1ELi0EEEviiP15ncclDevWorkColl@rel32@lo+4
	s_addc_u32 s5, s5, _ZN12_GLOBAL__N_17runRingIm13FuncPreMulSumImE7ProtoLLLi0ELi1ELi0EEEviiP15ncclDevWorkColl@rel32@hi+12
	s_swappc_b64 s[30:31], s[4:5]
	s_branch .LBB1_7
.LBB1_13:
	buffer_load_dword v63, off, s[0:3], s33 ; 4-byte Folded Reload
	buffer_load_dword v42, off, s[0:3], s33 offset:4 ; 4-byte Folded Reload
	buffer_load_dword v41, off, s[0:3], s33 offset:8 ; 4-byte Folded Reload
	;; [unrolled: 1-line block ×3, first 2 shown]
	v_readlane_b32 s30, v43, 28
	v_readlane_b32 s31, v43, 29
	;; [unrolled: 1-line block ×31, first 2 shown]
	s_or_saveexec_b64 s[6:7], -1
	buffer_load_dword v43, off, s[0:3], s33 offset:16 ; 4-byte Folded Reload
	s_mov_b64 exec, s[6:7]
	s_addk_i32 s32, 0xf800
	s_mov_b32 s33, s4
	s_waitcnt vmcnt(0)
	s_setpc_b64 s[30:31]
.Lfunc_end1:
	.size	_Z53ncclDevFunc_ReduceScatter_RING_LL_PreMulSum_u64_0_0_1v, .Lfunc_end1-_Z53ncclDevFunc_ReduceScatter_RING_LL_PreMulSum_u64_0_0_1v
                                        ; -- End function
	.section	.AMDGPU.csdata,"",@progbits
; Function info:
; codeLenInByte = 1072
; NumSgprs: 66
; NumVgprs: 64
; NumAgprs: 42
; TotalNumVgprs: 106
; ScratchSize: 136
; MemoryBound: 0
	.text
	.p2align	2                               ; -- Begin function _ZN12_GLOBAL__N_17runRingIm13FuncPreMulSumImE7ProtoLLLi0ELi2ELi0EEEviiP15ncclDevWorkColl
	.type	_ZN12_GLOBAL__N_17runRingIm13FuncPreMulSumImE7ProtoLLLi0ELi2ELi0EEEviiP15ncclDevWorkColl,@function
_ZN12_GLOBAL__N_17runRingIm13FuncPreMulSumImE7ProtoLLLi0ELi2ELi0EEEviiP15ncclDevWorkColl: ; @_ZN12_GLOBAL__N_17runRingIm13FuncPreMulSumImE7ProtoLLLi0ELi2ELi0EEEviiP15ncclDevWorkColl
; %bb.0:
	s_waitcnt vmcnt(0) expcnt(0) lgkmcnt(0)
	s_or_saveexec_b64 s[4:5], -1
	buffer_store_dword v63, off, s[0:3], s32 offset:96 ; 4-byte Folded Spill
	s_mov_b64 exec, s[4:5]
	buffer_store_dword v40, off, s[0:3], s32 offset:92 ; 4-byte Folded Spill
	buffer_store_dword v41, off, s[0:3], s32 offset:88 ; 4-byte Folded Spill
	;; [unrolled: 1-line block ×23, first 2 shown]
	buffer_store_dword a41, off, s[0:3], s32 ; 4-byte Folded Spill
	v_writelane_b32 v63, s34, 0
	v_writelane_b32 v63, s35, 1
	;; [unrolled: 1-line block ×22, first 2 shown]
	s_trap 2
	flat_load_dword v7, v[2:3]
	flat_load_dwordx4 v[56:59], v[2:3] offset:72
	flat_load_dwordx2 v[8:9], v[2:3] offset:88
	ds_read_b32 v4, v0
	ds_read_b64 v[22:23], v0
	v_mov_b32_e32 v24, v0
	v_mov_b32_e32 v20, v1
                                        ; implicit-def: $agpr4_agpr5
	s_waitcnt lgkmcnt(0)
	v_readfirstlane_b32 s20, v4
	s_waitcnt vmcnt(0)
	v_not_b32_sdwa v5, v7 dst_sel:DWORD dst_unused:UNUSED_PAD src0_sel:BYTE_0
	v_add_u32_sdwa v0, v7, v5 dst_sel:DWORD dst_unused:UNUSED_PAD src0_sel:BYTE_1 src1_sel:DWORD
	v_ashrrev_i32_e32 v1, 31, v0
	v_mul_lo_u32 v6, v59, v0
	v_mad_u64_u32 v[10:11], s[4:5], v58, v0, 0
	v_mul_lo_u32 v0, v58, v1
	v_add3_u32 v6, v11, v0, v6
	v_cmp_ne_u32_sdwa s[4:5], v7, v4 src0_sel:BYTE_0 src1_sel:DWORD
                                        ; implicit-def: $vgpr0_vgpr1
	s_and_saveexec_b64 s[6:7], s[4:5]
	s_xor_b64 s[4:5], exec, s[6:7]
	s_cbranch_execz .LBB2_6
; %bb.1:
	v_cmp_ne_u32_sdwa s[6:7], v7, v4 src0_sel:BYTE_1 src1_sel:DWORD
                                        ; implicit-def: $vgpr0_vgpr1
                                        ; implicit-def: $agpr4_agpr5
	s_and_saveexec_b64 s[10:11], s[6:7]
	s_xor_b64 s[6:7], exec, s[10:11]
	s_cbranch_execz .LBB2_3
; %bb.2:
	flat_load_dwordx2 v[0:1], v[2:3] offset:96
	v_add_u32_e32 v4, v4, v5
	v_ashrrev_i32_e32 v5, 31, v4
	v_mul_lo_u32 v5, v58, v5
	v_mul_lo_u32 v7, v59, v4
	v_mad_u64_u32 v[12:13], s[10:11], v58, v4, v[56:57]
	v_add3_u32 v13, v7, v13, v5
	v_accvgpr_write_b32 a4, v12
	v_accvgpr_write_b32 a5, v13
	s_waitcnt vmcnt(0) lgkmcnt(0)
	v_lshrrev_b64 v[0:1], 20, v[0:1]
.LBB2_3:
	s_andn2_saveexec_b64 s[6:7], s[6:7]
	s_cbranch_execz .LBB2_5
; %bb.4:
	flat_load_dword v0, v[2:3] offset:100
	v_add_co_u32_e32 v4, vcc, v10, v56
	v_addc_co_u32_e32 v5, vcc, v6, v57, vcc
	v_accvgpr_write_b32 a4, v4
	v_accvgpr_write_b32 a5, v5
	v_pk_mov_b32 v[58:59], v[8:9], v[8:9] op_sel:[0,1]
	s_waitcnt vmcnt(0) lgkmcnt(0)
	v_lshrrev_b32_e32 v0, 9, v0
.LBB2_5:
	s_or_b64 exec, exec, s[6:7]
.LBB2_6:
	s_andn2_saveexec_b64 s[4:5], s[4:5]
	s_cbranch_execz .LBB2_8
; %bb.7:
	flat_load_dwordx2 v[0:1], v[2:3] offset:96
	v_pk_mov_b32 v[4:5], 0, 0
	v_accvgpr_write_b32 a4, v4
	v_accvgpr_write_b32 a5, v5
	v_pk_mov_b32 v[58:59], v[56:57], v[56:57] op_sel:[0,1]
	s_waitcnt vmcnt(0) lgkmcnt(0)
	v_lshlrev_b64 v[0:1], 1, v[0:1]
.LBB2_8:
	s_or_b64 exec, exec, s[4:5]
	s_load_dword s4, s[8:9], 0x0
	flat_load_dwordx2 v[26:27], v[2:3] offset:104
	flat_load_ushort v5, v[2:3] offset:8
	flat_load_dword v4, v[2:3] offset:4
	flat_load_dwordx4 a[6:9], v[2:3] offset:16
	v_mov_b32_e32 v3, 0
	v_and_b32_e32 v1, 63, v24
	s_waitcnt lgkmcnt(0)
	s_cmp_lt_u32 s12, s4
	s_cselect_b32 s4, 12, 18
	s_add_u32 s4, s8, s4
	s_addc_u32 s5, s9, 0
	global_load_ushort v11, v3, s[4:5]
	s_trap 2
	ds_read_b32 v2, v0
	s_mov_b32 s6, 0
	v_pk_mov_b32 v[18:19], 0, 0
	v_cmp_eq_u32_e64 s[4:5], 0, v1
	s_waitcnt lgkmcnt(0)
	v_cmp_gt_i32_e32 vcc, 0, v2
	s_waitcnt vmcnt(0)
	v_lshrrev_b64 v[4:5], 31, v[4:5]
	v_and_b32_e32 v7, 3, v4
	s_cbranch_vccnz .LBB2_10
; %bb.9:
	s_trap 2
	ds_read_b64 v[4:5], v0
	v_lshlrev_b64 v[12:13], 3, v[2:3]
	v_and_b32_e32 v3, 0xffff, v7
	s_movk_i32 s6, 0xa8
	s_waitcnt lgkmcnt(0)
	v_add_co_u32_e32 v4, vcc, v4, v12
	v_addc_co_u32_e32 v5, vcc, v5, v13, vcc
	flat_load_dwordx2 v[4:5], v[4:5]
	s_waitcnt vmcnt(0) lgkmcnt(0)
	v_mad_u64_u32 v[4:5], s[6:7], v3, s6, v[4:5]
	flat_load_dwordx2 a[14:15], v[4:5] offset:504
	flat_load_dwordx2 v[36:37], v[4:5] offset:608
	v_add_co_u32_e32 v3, vcc, 0x1f8, v4
	v_addc_co_u32_e32 v4, vcc, 0, v5, vcc
	v_cndmask_b32_e64 v29, 0, v4, s[4:5]
	v_cndmask_b32_e64 v28, 0, v3, s[4:5]
	s_mov_b32 s6, 1
	s_branch .LBB2_11
.LBB2_10:
	v_pk_mov_b32 v[28:29], v[18:19], v[18:19] op_sel:[0,1]
                                        ; implicit-def: $vgpr36_vgpr37
                                        ; implicit-def: $agpr14_agpr15
.LBB2_11:
	s_trap 2
	ds_read_b32 v4, v0
	s_waitcnt lgkmcnt(0)
	v_cmp_gt_i32_e32 vcc, 0, v4
	s_cbranch_vccnz .LBB2_13
; %bb.12:
	s_trap 2
	ds_read_b64 v[12:13], v0
	v_mov_b32_e32 v5, 0
	v_lshlrev_b64 v[4:5], 3, v[4:5]
	v_and_b32_e32 v3, 0xffff, v7
	s_movk_i32 s4, 0xa8
	s_waitcnt lgkmcnt(0)
	v_add_co_u32_e32 v4, vcc, v12, v4
	v_addc_co_u32_e32 v5, vcc, v13, v5, vcc
	flat_load_dwordx2 v[4:5], v[4:5]
	v_cmp_eq_u32_e32 vcc, 0, v1
	s_waitcnt vmcnt(0) lgkmcnt(0)
	v_mad_u64_u32 v[4:5], s[4:5], v3, s4, v[4:5]
	flat_load_dwordx2 v[38:39], v[4:5]
	flat_load_dwordx2 v[16:17], v[4:5] offset:104
	v_cndmask_b32_e32 v19, 0, v5, vcc
	v_cndmask_b32_e32 v18, 0, v4, vcc
	s_branch .LBB2_14
.LBB2_13:
                                        ; implicit-def: $vgpr16_vgpr17
                                        ; implicit-def: $vgpr38_vgpr39
.LBB2_14:
	v_subrev_u32_e32 v3, 64, v20
	v_pk_mov_b32 v[12:13], 0, 0
	v_cmp_le_i32_e32 vcc, v3, v24
	v_cmp_gt_u32_e64 s[4:5], s6, v1
	v_accvgpr_write_b32 a17, v13
	s_and_b64 s[22:23], vcc, s[4:5]
	v_accvgpr_write_b32 a16, v12
                                        ; implicit-def: $vgpr48_vgpr49
	s_and_saveexec_b64 s[4:5], s[22:23]
	s_cbranch_execz .LBB2_16
; %bb.15:
	flat_load_dwordx2 a[16:17], v[28:29] offset:56
	flat_load_dwordx2 v[48:49], v[28:29] offset:104
.LBB2_16:
	s_or_b64 exec, exec, s[4:5]
	v_cmp_gt_i32_e64 s[4:5], s6, v24
	v_pk_mov_b32 v[52:53], v[12:13], v[12:13] op_sel:[0,1]
                                        ; implicit-def: $vgpr54_vgpr55
	s_and_saveexec_b64 s[6:7], s[4:5]
	s_cbranch_execz .LBB2_18
; %bb.17:
	flat_load_dwordx2 v[52:53], v[18:19] offset:56
	s_waitcnt vmcnt(0) lgkmcnt(0)
	flat_load_dwordx2 v[54:55], v[52:53] glc
	s_waitcnt vmcnt(0)
	flat_load_dwordx4 v[12:15], v[18:19] offset:96
.LBB2_18:
	s_or_b64 exec, exec, s[6:7]
	v_cmp_ne_u64_e32 vcc, 0, v[58:59]
	v_pk_mov_b32 v[40:41], 0, 0
	s_and_saveexec_b64 s[24:25], vcc
	s_cbranch_execz .LBB2_184
; %bb.19:
	v_ashrrev_i32_e32 v1, 31, v2
	v_lshrrev_b32_e32 v1, 29, v1
	v_add_u32_e32 v1, v2, v1
	v_ashrrev_i32_e32 v62, 7, v1
	v_add_co_u32_e32 v1, vcc, v8, v56
	v_addc_co_u32_e32 v2, vcc, v9, v57, vcc
	v_add_co_u32_e32 v46, vcc, v1, v10
	s_ashr_i32 s21, s20, 31
	v_addc_co_u32_e32 v47, vcc, v2, v6, vcc
	s_lshl_b64 s[6:7], s[20:21], 2
	v_mov_b32_e32 v1, s7
	v_add_co_u32_e32 v2, vcc, s6, v22
	v_addc_co_u32_e32 v1, vcc, v23, v1, vcc
	v_add_co_u32_e32 v2, vcc, -4, v2
	v_addc_co_u32_e32 v3, vcc, -1, v1, vcc
	v_and_b32_e32 v1, 63, v31
	v_ashrrev_i32_e32 v21, 31, v20
	v_cmp_eq_u32_e64 s[12:13], 0, v1
	v_lshrrev_b32_e32 v1, 26, v21
	v_mov_b32_e32 v45, 0
	v_accvgpr_write_b32 a19, v3
	v_add_u32_e32 v1, v20, v1
	v_and_b32_e32 v4, 0x3ffffe, v0
	v_mov_b32_e32 v5, v45
	v_accvgpr_write_b32 a18, v2
	v_ashrrev_i32_e32 v2, 6, v1
	v_pk_mov_b32 v[32:33], v[4:5], v[4:5] op_sel:[0,1]
	v_accvgpr_write_b32 a20, v2
	v_ashrrev_i32_e32 v1, 31, v2
	v_ashrrev_i32_e32 v25, 31, v24
	v_accvgpr_read_b32 v2, a6
	v_lshlrev_b64 v[8:9], 3, v[24:25]
	v_accvgpr_read_b32 v4, a8
	v_accvgpr_write_b32 a21, v1
	v_accvgpr_read_b32 v5, a9
	v_add_co_u32_e32 v1, vcc, v4, v8
	v_accvgpr_write_b32 a24, v1
	v_addc_co_u32_e32 v1, vcc, v5, v9, vcc
	v_accvgpr_read_b32 v3, a7
	v_accvgpr_write_b32 a25, v1
	v_add_co_u32_e32 v1, vcc, v2, v8
	v_accvgpr_write_b32 a26, v1
	v_addc_co_u32_e32 v1, vcc, v3, v9, vcc
	v_and_b32_e32 v44, 7, v2
	v_accvgpr_read_b32 v2, a4
	v_accvgpr_read_b32 v3, a5
	v_cmp_eq_u64_e32 vcc, 0, v[44:45]
	v_lshlrev_b64 v[2:3], 3, v[2:3]
	v_accvgpr_write_b32 a27, v1
	v_cndmask_b32_e64 v30, 0, 1, vcc
	v_add_co_u32_e32 v1, vcc, v2, v8
	v_lshlrev_b32_e32 v0, 3, v0
	v_addc_co_u32_e32 v2, vcc, v3, v9, vcc
	v_and_b32_e32 v0, 0x1fffff0, v0
	v_add_co_u32_e32 v50, vcc, v4, v1
	v_accvgpr_write_b32 a32, v0
	v_lshlrev_b64 v[0:1], 3, v[46:47]
	v_accvgpr_write_b32 a35, v1
	v_addc_co_u32_e32 v51, vcc, v5, v2, vcc
	v_accvgpr_write_b32 a34, v0
	v_lshlrev_b64 v[0:1], 4, v[24:25]
	s_waitcnt vmcnt(0) lgkmcnt(0)
	v_accvgpr_read_b32 v6, a16
	v_add_co_u32_e32 v0, vcc, v38, v0
	v_accvgpr_write_b32 a12, v28
	v_accvgpr_write_b32 a10, v18
	s_cmp_gt_i32 s20, 2
	v_accvgpr_read_b32 v7, a17
	v_accvgpr_write_b32 a23, v9
	v_accvgpr_write_b32 a29, v0
	v_addc_co_u32_e32 v0, vcc, v39, v1, vcc
	v_pk_mov_b32 v[42:43], 0, 0
	v_accvgpr_write_b32 a2, v58
	v_accvgpr_write_b32 a6, v32
	;; [unrolled: 1-line block ×4, first 2 shown]
	s_mov_b64 s[26:27], 0
	v_cmp_ne_u64_e64 s[6:7], 0, v[52:53]
	v_cmp_ne_u64_e64 s[8:9], 0, v[12:13]
	v_cmp_ne_u32_e64 s[10:11], 64, v20
	v_accvgpr_write_b32 a1, v11
	v_cmp_ne_u32_sdwa s[28:29], v11, v20 src0_sel:WORD_0 src1_sel:DWORD
	v_accvgpr_write_b32 a0, v31
	s_cselect_b64 s[30:31], -1, 0
	v_cmp_ne_u64_e64 s[14:15], 0, v[6:7]
	v_accvgpr_write_b32 a22, v8
	v_lshlrev_b64 v[28:29], 3, v[20:21]
	v_accvgpr_write_b32 a33, v0
	s_movk_i32 s21, 0x2710
	s_mov_b64 s[34:35], 0x7ffffff8
	v_mov_b32_e32 v31, 0
	v_lshlrev_b64 v[60:61], 4, v[20:21]
	v_pk_mov_b32 v[40:41], v[42:43], v[42:43] op_sel:[0,1]
	v_accvgpr_write_b32 a3, v59
	v_accvgpr_write_b32 a7, v33
	s_branch .LBB2_21
.LBB2_20:                               ;   in Loop: Header=BB2_21 Depth=1
	s_or_b64 exec, exec, s[16:17]
	v_add_co_u32_e32 v36, vcc, 1, v36
	v_addc_co_u32_e32 v37, vcc, 0, v37, vcc
	v_add_co_u32_e32 v42, vcc, v42, v32
	v_addc_co_u32_e32 v43, vcc, 0, v43, vcc
	v_cmp_ge_u64_e32 vcc, v[42:43], v[58:59]
	v_accvgpr_read_b32 v0, a32
	s_or_b64 s[26:27], vcc, s[26:27]
	v_add_co_u32_e32 v50, vcc, v50, v0
	v_addc_co_u32_e32 v51, vcc, 0, v51, vcc
	s_andn2_b64 exec, exec, s[26:27]
	s_cbranch_execz .LBB2_183
.LBB2_21:                               ; =>This Loop Header: Depth=1
                                        ;     Child Loop BB2_28 Depth 2
                                        ;     Child Loop BB2_45 Depth 2
	;; [unrolled: 1-line block ×5, first 2 shown]
                                        ;       Child Loop BB2_81 Depth 3
                                        ;       Child Loop BB2_97 Depth 3
	;; [unrolled: 1-line block ×3, first 2 shown]
                                        ;         Child Loop BB2_116 Depth 4
                                        ;       Child Loop BB2_130 Depth 3
                                        ;       Child Loop BB2_74 Depth 3
                                        ;     Child Loop BB2_145 Depth 2
                                        ;       Child Loop BB2_149 Depth 3
                                        ;     Child Loop BB2_171 Depth 2
	v_accvgpr_read_b32 v0, a18
	v_accvgpr_read_b32 v1, a19
	s_waitcnt vmcnt(0) lgkmcnt(0)
	flat_load_dword v2, v[0:1]
	v_sub_co_u32_e32 v0, vcc, v58, v42
	v_subb_co_u32_e32 v1, vcc, v59, v43, vcc
	v_cmp_lt_u64_e32 vcc, v[32:33], v[0:1]
	v_cndmask_b32_e32 v0, v0, v32, vcc
	v_accvgpr_write_b32 a38, v0
	s_and_saveexec_b64 s[16:17], s[6:7]
	s_cbranch_execz .LBB2_37
; %bb.22:                               ;   in Loop: Header=BB2_21 Depth=1
	v_add_co_u32_e32 v0, vcc, 1, v14
	v_addc_co_u32_e32 v1, vcc, 0, v15, vcc
	v_add_co_u32_e32 v4, vcc, 8, v54
	v_addc_co_u32_e32 v5, vcc, 0, v55, vcc
	v_cmp_lt_u64_e32 vcc, v[4:5], v[0:1]
	s_and_saveexec_b64 s[18:19], vcc
	s_cbranch_execz .LBB2_34
; %bb.23:                               ;   in Loop: Header=BB2_21 Depth=1
	s_sleep 1
	flat_load_dwordx2 v[54:55], v[52:53] glc
	v_cmp_eq_u32_e32 vcc, 0, v31
	s_and_saveexec_b64 s[36:37], vcc
	s_cbranch_execz .LBB2_33
; %bb.24:                               ;   in Loop: Header=BB2_21 Depth=1
	v_cndmask_b32_e64 v3, 0, 1, vcc
	s_mov_b64 s[38:39], 0
                                        ; implicit-def: $sgpr40_sgpr41
	s_branch .LBB2_28
.LBB2_25:                               ;   in Loop: Header=BB2_28 Depth=2
	s_or_b64 exec, exec, s[48:49]
	s_orn2_b64 s[46:47], s[46:47], exec
.LBB2_26:                               ;   in Loop: Header=BB2_28 Depth=2
	s_or_b64 exec, exec, s[44:45]
	s_xor_b64 vcc, s[46:47], -1
	s_andn2_b64 s[40:41], s[40:41], exec
	s_and_b64 vcc, vcc, exec
	s_or_b64 s[40:41], s[40:41], vcc
.LBB2_27:                               ;   in Loop: Header=BB2_28 Depth=2
	s_or_b64 exec, exec, s[42:43]
	s_and_b64 vcc, exec, s[40:41]
	s_or_b64 s[38:39], vcc, s[38:39]
	s_andn2_b64 exec, exec, s[38:39]
	s_cbranch_execz .LBB2_32
.LBB2_28:                               ;   Parent Loop BB2_21 Depth=1
                                        ; =>  This Inner Loop Header: Depth=2
	s_waitcnt vmcnt(0) lgkmcnt(0)
	v_add_co_u32_e32 v4, vcc, 8, v54
	v_addc_co_u32_e32 v5, vcc, 0, v55, vcc
	v_cmp_lt_u64_e32 vcc, v[4:5], v[0:1]
	v_mov_b32_e32 v31, 0
	s_or_b64 s[40:41], s[40:41], exec
	s_and_saveexec_b64 s[42:43], vcc
	s_cbranch_execz .LBB2_27
; %bb.29:                               ;   in Loop: Header=BB2_28 Depth=2
	s_sleep 1
	flat_load_dwordx2 v[54:55], v[52:53] glc
	v_add_u32_e32 v3, 1, v3
	v_cmp_eq_u32_e32 vcc, s21, v3
	s_mov_b64 s[46:47], -1
	v_mov_b32_e32 v31, 0
	s_and_saveexec_b64 s[44:45], vcc
	s_cbranch_execz .LBB2_26
; %bb.30:                               ;   in Loop: Header=BB2_28 Depth=2
	s_trap 2
	ds_read_b64 v[4:5], v0
	v_mov_b32_e32 v3, 0
	v_mov_b32_e32 v31, 0
	s_waitcnt vmcnt(0) lgkmcnt(0)
	flat_load_dword v4, v[4:5] glc
	s_waitcnt vmcnt(0) lgkmcnt(0)
	buffer_invl2
	buffer_wbinvl1_vol
	v_cmp_ne_u32_e32 vcc, 0, v4
	s_and_saveexec_b64 s[48:49], vcc
	s_cbranch_execz .LBB2_25
; %bb.31:                               ;   in Loop: Header=BB2_28 Depth=2
	v_mov_b32_e32 v31, 1
	s_xor_b64 s[46:47], exec, -1
	ds_write_b32 v0, v4
	s_trap 2
	s_branch .LBB2_25
.LBB2_32:                               ;   in Loop: Header=BB2_21 Depth=1
	s_or_b64 exec, exec, s[38:39]
.LBB2_33:                               ;   in Loop: Header=BB2_21 Depth=1
	s_or_b64 exec, exec, s[36:37]
.LBB2_34:                               ;   in Loop: Header=BB2_21 Depth=1
	s_or_b64 exec, exec, s[18:19]
	s_and_saveexec_b64 s[18:19], s[8:9]
	s_cbranch_execz .LBB2_36
; %bb.35:                               ;   in Loop: Header=BB2_21 Depth=1
	v_and_b32_e32 v44, 0x7ffffff8, v14
	v_cmp_eq_u64_e32 vcc, s[34:35], v[44:45]
	v_accvgpr_read_b32 v3, a38
	v_cndmask_b32_e32 v3, v3, v62, vcc
	v_lshlrev_b32_e32 v4, 4, v3
	v_and_b32_e32 v3, 7, v14
	v_ashrrev_i32_e32 v5, 31, v4
	v_mad_u64_u32 v[6:7], vcc, v3, 24, v[12:13]
	flat_store_dwordx2 v[6:7], v[4:5] offset:8
	s_waitcnt vmcnt(0)
.LBB2_36:                               ;   in Loop: Header=BB2_21 Depth=1
	s_or_b64 exec, exec, s[18:19]
	v_pk_mov_b32 v[14:15], v[0:1], v[0:1] op_sel:[0,1]
.LBB2_37:                               ;   in Loop: Header=BB2_21 Depth=1
	s_or_b64 exec, exec, s[16:17]
	s_and_saveexec_b64 s[16:17], s[10:11]
	s_cbranch_execz .LBB2_56
; %bb.38:                               ;   in Loop: Header=BB2_21 Depth=1
	s_and_saveexec_b64 s[18:19], s[28:29]
	s_xor_b64 s[18:19], exec, s[18:19]
	s_cbranch_execz .LBB2_53
; %bb.39:                               ;   in Loop: Header=BB2_21 Depth=1
	s_and_saveexec_b64 s[36:37], s[12:13]
	s_cbranch_execz .LBB2_52
; %bb.40:                               ;   in Loop: Header=BB2_21 Depth=1
	s_mov_b64 s[40:41], exec
	v_mbcnt_lo_u32_b32 v0, s40, 0
	v_mbcnt_hi_u32_b32 v0, s41, v0
	v_cmp_eq_u32_e32 vcc, 0, v0
	s_waitcnt vmcnt(0) lgkmcnt(0)
	buffer_wbinvl1_vol
	s_and_saveexec_b64 s[38:39], vcc
	s_cbranch_execz .LBB2_42
; %bb.41:                               ;   in Loop: Header=BB2_21 Depth=1
	s_bcnt1_i32_b64 vcc_lo, s[40:41]
	v_mov_b32_e32 v44, vcc_lo
	ds_add_u64 v0, v[44:45]
	s_trap 2
.LBB2_42:                               ;   in Loop: Header=BB2_21 Depth=1
	s_or_b64 exec, exec, s[38:39]
	s_trap 2
	ds_read_b64 v[0:1], v0
	v_accvgpr_read_b32 v4, a20
	v_add_co_u32_e32 v40, vcc, v40, v4
	v_accvgpr_read_b32 v3, a21
	v_addc_co_u32_e32 v41, vcc, v41, v3, vcc
	s_waitcnt lgkmcnt(0)
	v_cmp_lt_u64_e32 vcc, v[0:1], v[40:41]
	s_and_saveexec_b64 s[38:39], vcc
	s_cbranch_execz .LBB2_51
; %bb.43:                               ;   in Loop: Header=BB2_21 Depth=1
	s_mov_b32 s50, 0
	s_mov_b64 s[40:41], 0
                                        ; implicit-def: $sgpr42_sgpr43
                                        ; implicit-def: $sgpr44_sgpr45
	s_branch .LBB2_45
.LBB2_44:                               ;   in Loop: Header=BB2_45 Depth=2
	s_or_b64 exec, exec, s[48:49]
	s_and_b64 vcc, exec, vcc
	s_or_b64 s[40:41], vcc, s[40:41]
	s_andn2_b64 vcc, s[42:43], exec
	s_and_b64 s[42:43], s[44:45], exec
	s_or_b64 s[42:43], vcc, s[42:43]
	s_andn2_b64 exec, exec, s[40:41]
	s_cbranch_execz .LBB2_49
.LBB2_45:                               ;   Parent Loop BB2_21 Depth=1
                                        ; =>  This Inner Loop Header: Depth=2
	s_add_i32 s50, s50, 1
	s_cmpk_lg_i32 s50, 0x2710
	s_cselect_b64 s[46:47], -1, 0
	s_and_b64 vcc, exec, s[46:47]
                                        ; implicit-def: $sgpr48_sgpr49
	s_cbranch_vccnz .LBB2_47
; %bb.46:                               ;   in Loop: Header=BB2_45 Depth=2
	s_trap 2
	ds_read_b64 v[0:1], v0
	s_andn2_b64 s[46:47], s[46:47], exec
	s_mov_b32 s50, 0
	s_mov_b64 s[48:49], -1
	s_waitcnt lgkmcnt(0)
	flat_load_dword v0, v[0:1] glc
	s_waitcnt vmcnt(0) lgkmcnt(0)
	buffer_invl2
	buffer_wbinvl1_vol
	v_cmp_eq_u32_e32 vcc, 0, v0
	s_and_b64 vcc, vcc, exec
	s_or_b64 s[46:47], s[46:47], vcc
.LBB2_47:                               ;   in Loop: Header=BB2_45 Depth=2
	s_andn2_b64 s[44:45], s[44:45], exec
	s_and_b64 s[48:49], s[48:49], exec
	s_mov_b64 vcc, -1
	s_or_b64 s[44:45], s[44:45], s[48:49]
	s_and_saveexec_b64 s[48:49], s[46:47]
	s_cbranch_execz .LBB2_44
; %bb.48:                               ;   in Loop: Header=BB2_45 Depth=2
	s_sleep 1
	s_trap 2
	ds_read_b64 v[0:1], v0
	s_andn2_b64 s[44:45], s[44:45], exec
	s_waitcnt lgkmcnt(0)
	v_cmp_ge_u64_e32 vcc, v[0:1], v[40:41]
	s_orn2_b64 vcc, vcc, exec
	s_branch .LBB2_44
.LBB2_49:                               ;   in Loop: Header=BB2_21 Depth=1
	s_or_b64 exec, exec, s[40:41]
	s_and_saveexec_b64 vcc, s[42:43]
	s_xor_b64 vcc, exec, vcc
	s_cbranch_execz .LBB2_51
; %bb.50:                               ;   in Loop: Header=BB2_21 Depth=1
	v_mov_b32_e32 v0, 1
	ds_write_b32 v0, v0
	s_trap 2
.LBB2_51:                               ;   in Loop: Header=BB2_21 Depth=1
	s_or_b64 exec, exec, s[38:39]
	;;#ASMSTART
	s_wakeup
	;;#ASMEND
.LBB2_52:                               ;   in Loop: Header=BB2_21 Depth=1
	s_or_b64 exec, exec, s[36:37]
.LBB2_53:                               ;   in Loop: Header=BB2_21 Depth=1
	s_andn2_saveexec_b64 s[18:19], s[18:19]
	s_cbranch_execz .LBB2_55
; %bb.54:                               ;   in Loop: Header=BB2_21 Depth=1
	s_waitcnt vmcnt(0) lgkmcnt(0)
	buffer_wbinvl1_vol
	s_barrier
.LBB2_55:                               ;   in Loop: Header=BB2_21 Depth=1
	s_or_b64 exec, exec, s[18:19]
.LBB2_56:                               ;   in Loop: Header=BB2_21 Depth=1
	s_or_b64 exec, exec, s[16:17]
	v_accvgpr_read_b32 v0, a38
	v_sub_u32_e32 v34, v0, v24
	v_cmp_lt_i32_e64 s[16:17], 0, v34
	v_and_b32_e32 v1, 7, v16
	v_mov_b32_e32 v0, v24
	s_and_saveexec_b64 s[18:19], s[16:17]
	s_cbranch_execz .LBB2_60
; %bb.57:                               ;   in Loop: Header=BB2_21 Depth=1
	v_accvgpr_read_b32 v10, a34
	s_waitcnt vmcnt(0) lgkmcnt(0)
	v_ashrrev_i32_e32 v0, 31, v2
	v_mul_lo_u32 v4, v1, v62
	v_mov_b32_e32 v3, v16
	v_add_co_u32_e64 v8, vcc, 0, 0
	v_accvgpr_read_b32 v11, a35
	v_ashrrev_i32_e32 v5, 31, v4
	v_addc_co_u32_e32 v3, vcc, 1, v3, vcc
	v_mad_u64_u32 v[6:7], vcc, v10, v2, v[50:51]
	v_mul_lo_u32 v2, v11, v2
	v_mul_lo_u32 v0, v10, v0
	v_add3_u32 v7, v2, v7, v0
	v_lshlrev_b64 v[4:5], 4, v[4:5]
	v_accvgpr_read_b32 v0, a29
	v_add_co_u32_e32 v10, vcc, v0, v4
	v_accvgpr_read_b32 v0, a33
	v_addc_co_u32_e32 v11, vcc, v0, v5, vcc
	s_mov_b64 s[36:37], 0
	v_mov_b32_e32 v9, v34
	v_mov_b32_e32 v0, v24
.LBB2_58:                               ;   Parent Loop BB2_21 Depth=1
                                        ; =>  This Inner Loop Header: Depth=2
	global_load_dwordx2 v[18:19], v[6:7], off glc slc
	v_add_co_u32_e32 v6, vcc, v6, v28
	v_sub_u32_e32 v9, v9, v20
	v_addc_co_u32_e32 v7, vcc, v7, v29, vcc
	v_cmp_gt_i32_e32 vcc, 1, v9
	s_or_b64 s[36:37], vcc, s[36:37]
	v_mov_b32_e32 v5, v3
	v_add_u32_e32 v0, v0, v20
	s_waitcnt vmcnt(0)
	v_mul_lo_u32 v2, v19, v26
	v_mul_lo_u32 v4, v18, v27
	v_mad_u64_u32 v[18:19], vcc, v18, v26, 0
	v_add3_u32 v4, v19, v4, v2
	v_or_b32_e32 v2, v8, v18
	v_or_b32_e32 v4, v8, v4
	global_store_dwordx4 v[10:11], v[2:5], off
	v_add_co_u32_e32 v10, vcc, v10, v60
	v_addc_co_u32_e32 v11, vcc, v11, v61, vcc
	s_andn2_b64 exec, exec, s[36:37]
	s_cbranch_execnz .LBB2_58
; %bb.59:                               ;   in Loop: Header=BB2_21 Depth=1
	s_or_b64 exec, exec, s[36:37]
.LBB2_60:                               ;   in Loop: Header=BB2_21 Depth=1
	s_or_b64 exec, exec, s[18:19]
	v_and_b32_e32 v44, 0x7ffffff8, v16
	v_cmp_eq_u64_e32 vcc, s[34:35], v[44:45]
	v_cmp_gt_i32_e64 s[18:19], v62, v0
	s_and_b64 s[18:19], vcc, s[18:19]
	s_and_saveexec_b64 s[36:37], s[18:19]
	s_cbranch_execz .LBB2_63
; %bb.61:                               ;   in Loop: Header=BB2_21 Depth=1
	v_mul_lo_u32 v4, v1, v62
	v_mov_b32_e32 v1, v16
	s_waitcnt vmcnt(0) lgkmcnt(0)
	v_add_co_u32_e64 v2, vcc, 0, 0
	v_ashrrev_i32_e32 v5, 31, v4
	v_addc_co_u32_e32 v3, vcc, 1, v1, vcc
	v_ashrrev_i32_e32 v1, 31, v0
	v_lshlrev_b64 v[6:7], 4, v[0:1]
	v_lshlrev_b64 v[4:5], 4, v[4:5]
	v_add_co_u32_e32 v1, vcc, v6, v4
	v_addc_co_u32_e32 v4, vcc, v7, v5, vcc
	v_add_co_u32_e32 v6, vcc, v38, v1
	v_addc_co_u32_e32 v7, vcc, v39, v4, vcc
	s_mov_b64 s[38:39], 0
.LBB2_62:                               ;   Parent Loop BB2_21 Depth=1
                                        ; =>  This Inner Loop Header: Depth=2
	v_mov_b32_e32 v4, v2
	v_mov_b32_e32 v5, v3
	v_add_u32_e32 v0, v0, v20
	global_store_dwordx4 v[6:7], v[2:5], off
	v_cmp_ge_i32_e32 vcc, v0, v62
	v_add_co_u32_e64 v6, s[18:19], v6, v60
	s_or_b64 s[38:39], vcc, s[38:39]
	v_addc_co_u32_e64 v7, vcc, v7, v61, s[18:19]
	s_andn2_b64 exec, exec, s[38:39]
	s_cbranch_execnz .LBB2_62
.LBB2_63:                               ;   in Loop: Header=BB2_21 Depth=1
	s_or_b64 exec, exec, s[36:37]
	v_accvgpr_read_b32 v0, a4
	v_accvgpr_read_b32 v1, a5
	v_add_co_u32_e32 v0, vcc, v42, v0
	v_addc_co_u32_e32 v1, vcc, v43, v1, vcc
	v_add_co_u32_e32 v10, vcc, 1, v16
	v_addc_co_u32_e32 v11, vcc, 0, v17, vcc
	s_andn2_b64 vcc, exec, s[30:31]
	v_lshlrev_b64 v[8:9], 3, v[0:1]
	s_cbranch_vccnz .LBB2_141
; %bb.64:                               ;   in Loop: Header=BB2_21 Depth=1
	v_accvgpr_read_b32 v0, a24
	v_accvgpr_write_b32 a36, v42
	v_accvgpr_write_b32 a30, v50
	v_add_co_u32_e32 v56, vcc, v0, v8
	v_accvgpr_read_b32 v0, a25
	v_accvgpr_write_b32 a41, v9
	v_accvgpr_write_b32 a37, v43
	;; [unrolled: 1-line block ×5, first 2 shown]
	v_addc_co_u32_e32 v57, vcc, v0, v9, vcc
	v_add_u16_e32 v21, 1, v16
	s_mov_b32 s52, 2
	s_branch .LBB2_66
.LBB2_65:                               ;   in Loop: Header=BB2_66 Depth=2
	s_or_b64 exec, exec, s[36:37]
	v_add_co_u32_e32 v36, vcc, 1, v36
	v_addc_co_u32_e32 v37, vcc, 0, v37, vcc
	s_add_i32 s52, s52, 1
	v_add_co_u32_e32 v10, vcc, 1, v10
	v_addc_co_u32_e32 v11, vcc, 0, v11, vcc
	s_cmp_eq_u32 s52, s20
	v_add_u16_e32 v21, 1, v21
	s_cbranch_scc1 .LBB2_142
.LBB2_66:                               ;   Parent Loop BB2_21 Depth=1
                                        ; =>  This Loop Header: Depth=2
                                        ;       Child Loop BB2_81 Depth 3
                                        ;       Child Loop BB2_97 Depth 3
	;; [unrolled: 1-line block ×3, first 2 shown]
                                        ;         Child Loop BB2_116 Depth 4
                                        ;       Child Loop BB2_130 Depth 3
                                        ;       Child Loop BB2_74 Depth 3
	s_sub_i32 s18, s20, s52
	s_ashr_i32 s19, s18, 31
	s_lshl_b64 s[18:19], s[18:19], 2
	v_mov_b32_e32 v1, s19
	v_add_co_u32_e32 v0, vcc, s18, v22
	v_addc_co_u32_e32 v1, vcc, v23, v1, vcc
	s_waitcnt vmcnt(0) lgkmcnt(0)
	flat_load_dword v2, v[0:1]
	s_and_saveexec_b64 s[18:19], s[6:7]
	s_cbranch_execnz .LBB2_75
; %bb.67:                               ;   in Loop: Header=BB2_66 Depth=2
	s_or_b64 exec, exec, s[18:19]
	s_and_saveexec_b64 s[18:19], s[10:11]
	s_cbranch_execnz .LBB2_90
.LBB2_68:                               ;   in Loop: Header=BB2_66 Depth=2
	s_or_b64 exec, exec, s[18:19]
	v_mov_b32_e32 v0, v24
	s_and_saveexec_b64 s[36:37], s[16:17]
	s_cbranch_execnz .LBB2_108
.LBB2_69:                               ;   in Loop: Header=BB2_66 Depth=2
	s_or_b64 exec, exec, s[36:37]
	s_and_saveexec_b64 s[18:19], s[10:11]
	s_cbranch_execnz .LBB2_123
.LBB2_70:                               ;   in Loop: Header=BB2_66 Depth=2
	s_or_b64 exec, exec, s[18:19]
	s_and_saveexec_b64 s[18:19], s[14:15]
	s_cbranch_execz .LBB2_72
.LBB2_71:                               ;   in Loop: Header=BB2_66 Depth=2
	v_add_co_u32_e32 v48, vcc, 1, v48
	s_waitcnt vmcnt(0) lgkmcnt(0)
	v_accvgpr_read_b32 v2, a16
	v_addc_co_u32_e32 v49, vcc, 0, v49, vcc
	v_accvgpr_read_b32 v3, a17
	flat_store_dwordx2 v[2:3], v[48:49]
.LBB2_72:                               ;   in Loop: Header=BB2_66 Depth=2
	s_or_b64 exec, exec, s[18:19]
	v_and_b32_e32 v44, 0x7ffffff8, v10
	v_cmp_eq_u64_e32 vcc, s[34:35], v[44:45]
	v_cmp_gt_i32_e64 s[18:19], v62, v0
	s_and_b64 s[18:19], vcc, s[18:19]
	s_and_saveexec_b64 s[36:37], s[18:19]
	s_cbranch_execz .LBB2_65
; %bb.73:                               ;   in Loop: Header=BB2_66 Depth=2
	v_and_b32_e32 v1, 7, v21
	s_waitcnt vmcnt(0) lgkmcnt(0)
	v_mul_lo_u32 v2, v62, v1
	v_ashrrev_i32_e32 v3, 31, v2
	v_lshlrev_b64 v[4:5], 4, v[2:3]
	v_mov_b32_e32 v1, v10
	v_add_co_u32_e64 v2, vcc, 0, 0
	v_addc_co_u32_e32 v3, vcc, 1, v1, vcc
	v_ashrrev_i32_e32 v1, 31, v0
	v_lshlrev_b64 v[6:7], 4, v[0:1]
	v_add_co_u32_e32 v1, vcc, v6, v4
	v_addc_co_u32_e32 v4, vcc, v7, v5, vcc
	v_add_co_u32_e32 v6, vcc, v38, v1
	v_addc_co_u32_e32 v7, vcc, v39, v4, vcc
	s_mov_b64 s[38:39], 0
.LBB2_74:                               ;   Parent Loop BB2_21 Depth=1
                                        ;     Parent Loop BB2_66 Depth=2
                                        ; =>    This Inner Loop Header: Depth=3
	v_mov_b32_e32 v4, v2
	v_mov_b32_e32 v5, v3
	v_add_u32_e32 v0, v0, v20
	global_store_dwordx4 v[6:7], v[2:5], off
	v_cmp_ge_i32_e32 vcc, v0, v62
	v_add_co_u32_e64 v6, s[18:19], v6, v60
	s_or_b64 s[38:39], vcc, s[38:39]
	v_addc_co_u32_e64 v7, vcc, v7, v61, s[18:19]
	s_andn2_b64 exec, exec, s[38:39]
	s_cbranch_execnz .LBB2_74
	s_branch .LBB2_65
.LBB2_75:                               ;   in Loop: Header=BB2_66 Depth=2
	v_add_co_u32_e32 v0, vcc, 1, v14
	v_addc_co_u32_e32 v1, vcc, 0, v15, vcc
	v_add_co_u32_e32 v4, vcc, 8, v54
	v_addc_co_u32_e32 v5, vcc, 0, v55, vcc
	v_cmp_lt_u64_e32 vcc, v[4:5], v[0:1]
	s_and_saveexec_b64 s[36:37], vcc
	s_cbranch_execz .LBB2_87
; %bb.76:                               ;   in Loop: Header=BB2_66 Depth=2
	s_sleep 1
	flat_load_dwordx2 v[54:55], v[52:53] glc
	v_cmp_eq_u32_e32 vcc, 0, v31
	s_and_saveexec_b64 s[38:39], vcc
	s_cbranch_execz .LBB2_86
; %bb.77:                               ;   in Loop: Header=BB2_66 Depth=2
	v_cndmask_b32_e64 v3, 0, 1, vcc
	s_mov_b64 s[40:41], 0
                                        ; implicit-def: $sgpr42_sgpr43
	s_branch .LBB2_81
.LBB2_78:                               ;   in Loop: Header=BB2_81 Depth=3
	s_or_b64 exec, exec, s[50:51]
	s_orn2_b64 s[48:49], s[48:49], exec
.LBB2_79:                               ;   in Loop: Header=BB2_81 Depth=3
	s_or_b64 exec, exec, s[46:47]
	s_xor_b64 vcc, s[48:49], -1
	s_andn2_b64 s[42:43], s[42:43], exec
	s_and_b64 vcc, vcc, exec
	s_or_b64 s[42:43], s[42:43], vcc
.LBB2_80:                               ;   in Loop: Header=BB2_81 Depth=3
	s_or_b64 exec, exec, s[44:45]
	s_and_b64 vcc, exec, s[42:43]
	s_or_b64 s[40:41], vcc, s[40:41]
	s_andn2_b64 exec, exec, s[40:41]
	s_cbranch_execz .LBB2_85
.LBB2_81:                               ;   Parent Loop BB2_21 Depth=1
                                        ;     Parent Loop BB2_66 Depth=2
                                        ; =>    This Inner Loop Header: Depth=3
	s_waitcnt vmcnt(0) lgkmcnt(0)
	v_add_co_u32_e32 v4, vcc, 8, v54
	v_addc_co_u32_e32 v5, vcc, 0, v55, vcc
	v_cmp_lt_u64_e32 vcc, v[4:5], v[0:1]
	v_mov_b32_e32 v31, 0
	s_or_b64 s[42:43], s[42:43], exec
	s_and_saveexec_b64 s[44:45], vcc
	s_cbranch_execz .LBB2_80
; %bb.82:                               ;   in Loop: Header=BB2_81 Depth=3
	s_sleep 1
	flat_load_dwordx2 v[54:55], v[52:53] glc
	v_add_u32_e32 v3, 1, v3
	v_cmp_eq_u32_e32 vcc, s21, v3
	s_mov_b64 s[48:49], -1
	v_mov_b32_e32 v31, 0
	s_and_saveexec_b64 s[46:47], vcc
	s_cbranch_execz .LBB2_79
; %bb.83:                               ;   in Loop: Header=BB2_81 Depth=3
	s_trap 2
	ds_read_b64 v[4:5], v0
	v_mov_b32_e32 v3, 0
	v_mov_b32_e32 v31, 0
	s_waitcnt vmcnt(0) lgkmcnt(0)
	flat_load_dword v4, v[4:5] glc
	s_waitcnt vmcnt(0) lgkmcnt(0)
	buffer_invl2
	buffer_wbinvl1_vol
	v_cmp_ne_u32_e32 vcc, 0, v4
	s_and_saveexec_b64 s[50:51], vcc
	s_cbranch_execz .LBB2_78
; %bb.84:                               ;   in Loop: Header=BB2_81 Depth=3
	v_mov_b32_e32 v31, 1
	s_xor_b64 s[48:49], exec, -1
	ds_write_b32 v0, v4
	s_trap 2
	s_branch .LBB2_78
.LBB2_85:                               ;   in Loop: Header=BB2_66 Depth=2
	s_or_b64 exec, exec, s[40:41]
.LBB2_86:                               ;   in Loop: Header=BB2_66 Depth=2
	s_or_b64 exec, exec, s[38:39]
.LBB2_87:                               ;   in Loop: Header=BB2_66 Depth=2
	s_or_b64 exec, exec, s[36:37]
	s_and_saveexec_b64 s[36:37], s[8:9]
	s_cbranch_execz .LBB2_89
; %bb.88:                               ;   in Loop: Header=BB2_66 Depth=2
	v_and_b32_e32 v44, 0x7ffffff8, v14
	v_cmp_eq_u64_e32 vcc, s[34:35], v[44:45]
	v_accvgpr_read_b32 v3, a38
	v_cndmask_b32_e32 v3, v3, v62, vcc
	v_lshlrev_b32_e32 v4, 4, v3
	v_and_b32_e32 v3, 7, v14
	v_ashrrev_i32_e32 v5, 31, v4
	v_mad_u64_u32 v[6:7], vcc, v3, 24, v[12:13]
	flat_store_dwordx2 v[6:7], v[4:5] offset:8
	s_waitcnt vmcnt(0)
.LBB2_89:                               ;   in Loop: Header=BB2_66 Depth=2
	s_or_b64 exec, exec, s[36:37]
	v_pk_mov_b32 v[14:15], v[0:1], v[0:1] op_sel:[0,1]
	s_or_b64 exec, exec, s[18:19]
	s_and_saveexec_b64 s[18:19], s[10:11]
	s_cbranch_execz .LBB2_68
.LBB2_90:                               ;   in Loop: Header=BB2_66 Depth=2
	s_and_saveexec_b64 vcc, s[28:29]
	s_xor_b64 s[36:37], exec, vcc
	s_cbranch_execz .LBB2_105
; %bb.91:                               ;   in Loop: Header=BB2_66 Depth=2
	s_and_saveexec_b64 s[38:39], s[12:13]
	s_cbranch_execz .LBB2_104
; %bb.92:                               ;   in Loop: Header=BB2_66 Depth=2
	s_mov_b64 s[42:43], exec
	v_mbcnt_lo_u32_b32 v0, s42, 0
	v_mbcnt_hi_u32_b32 v0, s43, v0
	v_cmp_eq_u32_e32 vcc, 0, v0
	s_waitcnt vmcnt(0) lgkmcnt(0)
	buffer_wbinvl1_vol
	s_and_saveexec_b64 s[40:41], vcc
	s_cbranch_execz .LBB2_94
; %bb.93:                               ;   in Loop: Header=BB2_66 Depth=2
	s_bcnt1_i32_b64 vcc_lo, s[42:43]
	v_mov_b32_e32 v44, vcc_lo
	ds_add_u64 v0, v[44:45]
	s_trap 2
.LBB2_94:                               ;   in Loop: Header=BB2_66 Depth=2
	s_or_b64 exec, exec, s[40:41]
	s_trap 2
	ds_read_b64 v[0:1], v0
	v_accvgpr_read_b32 v4, a20
	v_add_co_u32_e32 v40, vcc, v40, v4
	v_accvgpr_read_b32 v3, a21
	v_addc_co_u32_e32 v41, vcc, v41, v3, vcc
	s_waitcnt lgkmcnt(0)
	v_cmp_lt_u64_e32 vcc, v[0:1], v[40:41]
	s_and_saveexec_b64 s[40:41], vcc
	s_cbranch_execz .LBB2_103
; %bb.95:                               ;   in Loop: Header=BB2_66 Depth=2
	s_mov_b32 s53, 0
	s_mov_b64 s[42:43], 0
                                        ; implicit-def: $sgpr44_sgpr45
                                        ; implicit-def: $sgpr46_sgpr47
	s_branch .LBB2_97
.LBB2_96:                               ;   in Loop: Header=BB2_97 Depth=3
	s_or_b64 exec, exec, s[50:51]
	s_and_b64 vcc, exec, vcc
	s_or_b64 s[42:43], vcc, s[42:43]
	s_andn2_b64 vcc, s[44:45], exec
	s_and_b64 s[44:45], s[46:47], exec
	s_or_b64 s[44:45], vcc, s[44:45]
	s_andn2_b64 exec, exec, s[42:43]
	s_cbranch_execz .LBB2_101
.LBB2_97:                               ;   Parent Loop BB2_21 Depth=1
                                        ;     Parent Loop BB2_66 Depth=2
                                        ; =>    This Inner Loop Header: Depth=3
	s_add_i32 s53, s53, 1
	s_cmpk_lg_i32 s53, 0x2710
	s_cselect_b64 s[48:49], -1, 0
	s_and_b64 vcc, exec, s[48:49]
                                        ; implicit-def: $sgpr50_sgpr51
	s_cbranch_vccnz .LBB2_99
; %bb.98:                               ;   in Loop: Header=BB2_97 Depth=3
	s_trap 2
	ds_read_b64 v[0:1], v0
	s_andn2_b64 s[48:49], s[48:49], exec
	s_mov_b32 s53, 0
	s_mov_b64 s[50:51], -1
	s_waitcnt lgkmcnt(0)
	flat_load_dword v0, v[0:1] glc
	s_waitcnt vmcnt(0) lgkmcnt(0)
	buffer_invl2
	buffer_wbinvl1_vol
	v_cmp_eq_u32_e32 vcc, 0, v0
	s_and_b64 vcc, vcc, exec
	s_or_b64 s[48:49], s[48:49], vcc
.LBB2_99:                               ;   in Loop: Header=BB2_97 Depth=3
	s_andn2_b64 s[46:47], s[46:47], exec
	s_and_b64 s[50:51], s[50:51], exec
	s_mov_b64 vcc, -1
	s_or_b64 s[46:47], s[46:47], s[50:51]
	s_and_saveexec_b64 s[50:51], s[48:49]
	s_cbranch_execz .LBB2_96
; %bb.100:                              ;   in Loop: Header=BB2_97 Depth=3
	s_sleep 1
	s_trap 2
	ds_read_b64 v[0:1], v0
	s_andn2_b64 s[46:47], s[46:47], exec
	s_waitcnt lgkmcnt(0)
	v_cmp_ge_u64_e32 vcc, v[0:1], v[40:41]
	s_orn2_b64 vcc, vcc, exec
	s_branch .LBB2_96
.LBB2_101:                              ;   in Loop: Header=BB2_66 Depth=2
	s_or_b64 exec, exec, s[42:43]
	s_and_saveexec_b64 vcc, s[44:45]
	s_xor_b64 vcc, exec, vcc
	s_cbranch_execz .LBB2_103
; %bb.102:                              ;   in Loop: Header=BB2_66 Depth=2
	v_mov_b32_e32 v0, 1
	ds_write_b32 v0, v0
	s_trap 2
.LBB2_103:                              ;   in Loop: Header=BB2_66 Depth=2
	s_or_b64 exec, exec, s[40:41]
	;;#ASMSTART
	s_wakeup
	;;#ASMEND
.LBB2_104:                              ;   in Loop: Header=BB2_66 Depth=2
	s_or_b64 exec, exec, s[38:39]
.LBB2_105:                              ;   in Loop: Header=BB2_66 Depth=2
	s_andn2_saveexec_b64 vcc, s[36:37]
	s_cbranch_execz .LBB2_107
; %bb.106:                              ;   in Loop: Header=BB2_66 Depth=2
	s_waitcnt vmcnt(0) lgkmcnt(0)
	buffer_wbinvl1_vol
	s_barrier
.LBB2_107:                              ;   in Loop: Header=BB2_66 Depth=2
	s_or_b64 exec, exec, vcc
	s_or_b64 exec, exec, s[18:19]
	v_mov_b32_e32 v0, v24
	s_and_saveexec_b64 s[36:37], s[16:17]
	s_cbranch_execz .LBB2_69
.LBB2_108:                              ;   in Loop: Header=BB2_66 Depth=2
	s_waitcnt vmcnt(0) lgkmcnt(0)
	v_ashrrev_i32_e32 v0, 31, v2
	v_mul_lo_u32 v3, v47, v2
	v_mul_lo_u32 v4, v46, v0
	v_mad_u64_u32 v[0:1], s[18:19], v46, v2, 0
	v_add3_u32 v1, v1, v4, v3
	v_lshlrev_b64 v[0:1], 3, v[0:1]
	v_add_co_u32_e32 v58, vcc, v56, v0
	v_and_b32_e32 v0, 7, v36
	v_mul_lo_u32 v0, v0, v62
	v_addc_co_u32_e32 v59, vcc, v57, v1, vcc
	v_ashrrev_i32_e32 v1, 31, v0
	v_lshlrev_b64 v[0:1], 4, v[0:1]
	v_accvgpr_read_b32 v2, a14
	v_add_co_u32_e32 v44, vcc, v2, v0
	v_and_b32_e32 v0, 7, v10
	v_accvgpr_read_b32 v3, a15
	v_mul_lo_u32 v0, v0, v62
	v_addc_co_u32_e32 v30, vcc, v3, v1, vcc
	v_ashrrev_i32_e32 v1, 31, v0
	v_lshlrev_b64 v[0:1], 4, v[0:1]
	v_add_co_u32_e32 v51, vcc, v38, v0
	v_addc_co_u32_e32 v8, vcc, v39, v1, vcc
	v_mov_b32_e32 v1, v10
	v_add_co_u32_e64 v9, vcc, 0, 0
	v_add_u32_e32 v50, 1, v36
	v_addc_co_u32_e32 v3, vcc, 1, v1, vcc
	s_mov_b64 s[38:39], 0
	v_mov_b32_e32 v35, v31
	v_mov_b32_e32 v25, v34
	;; [unrolled: 1-line block ×3, first 2 shown]
	s_branch .LBB2_112
.LBB2_109:                              ;   in Loop: Header=BB2_112 Depth=3
	s_or_b64 exec, exec, s[44:45]
.LBB2_110:                              ;   in Loop: Header=BB2_112 Depth=3
	s_or_b64 exec, exec, s[42:43]
.LBB2_111:                              ;   in Loop: Header=BB2_112 Depth=3
	s_or_b64 exec, exec, s[40:41]
	v_add_co_u32_e32 v58, vcc, v58, v28
	s_waitcnt vmcnt(0)
	v_mov_b32_e32 v17, v45
	v_addc_co_u32_e32 v59, vcc, v59, v29, vcc
	v_mad_u64_u32 v[16:17], s[18:19], v4, v26, v[16:17]
	v_mov_b32_e32 v2, v17
	v_add_co_u32_e32 v6, vcc, v51, v6
	v_mul_lo_u32 v1, v4, v27
	v_mad_u64_u32 v[4:5], s[18:19], v5, v26, v[2:3]
	v_addc_co_u32_e32 v7, vcc, v8, v7, vcc
	v_sub_u32_e32 v25, v25, v20
	v_add3_u32 v1, v1, v4, v18
	v_cmp_gt_i32_e32 vcc, 1, v25
	v_or_b32_e32 v2, v16, v9
	v_or_b32_e32 v4, v9, v1
	v_mov_b32_e32 v5, v3
	s_or_b64 s[38:39], vcc, s[38:39]
	v_add_u32_e32 v0, v0, v20
	global_store_dwordx4 v[6:7], v[2:5], off
	s_andn2_b64 exec, exec, s[38:39]
	s_cbranch_execz .LBB2_122
.LBB2_112:                              ;   Parent Loop BB2_21 Depth=1
                                        ;     Parent Loop BB2_66 Depth=2
                                        ; =>    This Loop Header: Depth=3
                                        ;         Child Loop BB2_116 Depth 4
	v_ashrrev_i32_e32 v1, 31, v0
	v_lshlrev_b64 v[6:7], 4, v[0:1]
	v_add_co_u32_e32 v42, vcc, v44, v6
	v_addc_co_u32_e32 v43, vcc, v30, v7, vcc
	global_load_dwordx2 v[4:5], v[58:59], off glc slc
	global_load_dwordx4 v[16:19], v[42:43], off glc slc
	v_cmp_eq_u32_e32 vcc, 0, v35
	s_and_saveexec_b64 s[40:41], vcc
	s_cbranch_execz .LBB2_111
; %bb.113:                              ;   in Loop: Header=BB2_112 Depth=3
	s_waitcnt vmcnt(0)
	v_cmp_ne_u32_e32 vcc, v50, v17
	v_cmp_ne_u32_e64 s[18:19], v50, v19
	s_or_b64 s[18:19], vcc, s[18:19]
	v_mov_b32_e32 v35, 0
	s_and_saveexec_b64 s[42:43], s[18:19]
	s_cbranch_execz .LBB2_110
; %bb.114:                              ;   in Loop: Header=BB2_112 Depth=3
	s_mov_b32 s48, 1
	s_mov_b64 s[44:45], 0
	v_mov_b32_e32 v35, 0
	s_branch .LBB2_116
.LBB2_115:                              ;   in Loop: Header=BB2_116 Depth=4
	s_or_b64 exec, exec, s[46:47]
	s_and_b64 s[18:19], exec, s[18:19]
	s_or_b64 s[44:45], s[18:19], s[44:45]
	s_andn2_b64 exec, exec, s[44:45]
	s_cbranch_execz .LBB2_109
.LBB2_116:                              ;   Parent Loop BB2_21 Depth=1
                                        ;     Parent Loop BB2_66 Depth=2
                                        ;       Parent Loop BB2_112 Depth=3
                                        ; =>      This Inner Loop Header: Depth=4
	global_load_dwordx4 v[16:19], v[42:43], off glc slc
	s_add_i32 s48, s48, 1
	s_cmpk_lg_i32 s48, 0x2710
	s_cbranch_scc1 .LBB2_120
; %bb.117:                              ;   in Loop: Header=BB2_116 Depth=4
	s_trap 2
	ds_read_b64 v[32:33], v0
	v_mov_b32_e32 v35, v31
	s_waitcnt vmcnt(0) lgkmcnt(0)
	flat_load_dword v1, v[32:33] glc
	s_waitcnt vmcnt(0) lgkmcnt(0)
	buffer_invl2
	buffer_wbinvl1_vol
	v_cmp_ne_u32_e32 vcc, 0, v1
	s_and_saveexec_b64 s[18:19], vcc
	s_cbranch_execz .LBB2_119
; %bb.118:                              ;   in Loop: Header=BB2_116 Depth=4
	v_or_b32_e32 v35, 1, v31
	v_mov_b32_e32 v31, 1
	ds_write_b32 v0, v1
	s_trap 2
.LBB2_119:                              ;   in Loop: Header=BB2_116 Depth=4
	s_or_b64 exec, exec, s[18:19]
	v_mov_b32_e32 v1, v31
	s_mov_b32 s48, 0
	v_mov_b32_e32 v31, v35
	v_cmp_eq_u32_e32 vcc, 0, v1
	s_mov_b64 s[18:19], -1
	s_and_saveexec_b64 s[46:47], vcc
	s_cbranch_execz .LBB2_115
	s_branch .LBB2_121
.LBB2_120:                              ;   in Loop: Header=BB2_116 Depth=4
	v_mov_b32_e32 v1, 0
	v_cmp_eq_u32_e32 vcc, 0, v1
	s_mov_b64 s[18:19], -1
	s_and_saveexec_b64 s[46:47], vcc
	s_cbranch_execz .LBB2_115
.LBB2_121:                              ;   in Loop: Header=BB2_116 Depth=4
	s_waitcnt vmcnt(0)
	v_cmp_eq_u32_e32 vcc, v50, v17
	v_cmp_eq_u32_e64 s[18:19], v50, v19
	s_and_b64 s[18:19], vcc, s[18:19]
	s_orn2_b64 s[18:19], s[18:19], exec
	s_branch .LBB2_115
.LBB2_122:                              ;   in Loop: Header=BB2_66 Depth=2
	s_or_b64 exec, exec, s[38:39]
	s_or_b64 exec, exec, s[36:37]
	s_and_saveexec_b64 s[18:19], s[10:11]
	s_cbranch_execz .LBB2_70
.LBB2_123:                              ;   in Loop: Header=BB2_66 Depth=2
	s_and_saveexec_b64 vcc, s[28:29]
	s_xor_b64 s[36:37], exec, vcc
	s_cbranch_execz .LBB2_138
; %bb.124:                              ;   in Loop: Header=BB2_66 Depth=2
	s_and_saveexec_b64 s[38:39], s[12:13]
	s_cbranch_execz .LBB2_137
; %bb.125:                              ;   in Loop: Header=BB2_66 Depth=2
	s_mov_b64 s[42:43], exec
	v_mbcnt_lo_u32_b32 v1, s42, 0
	v_mbcnt_hi_u32_b32 v1, s43, v1
	v_cmp_eq_u32_e32 vcc, 0, v1
	s_waitcnt vmcnt(0) lgkmcnt(0)
	buffer_wbinvl1_vol
	s_and_saveexec_b64 s[40:41], vcc
	s_cbranch_execz .LBB2_127
; %bb.126:                              ;   in Loop: Header=BB2_66 Depth=2
	s_bcnt1_i32_b64 vcc_lo, s[42:43]
	v_mov_b32_e32 v44, vcc_lo
	ds_add_u64 v0, v[44:45]
	s_trap 2
.LBB2_127:                              ;   in Loop: Header=BB2_66 Depth=2
	s_or_b64 exec, exec, s[40:41]
	s_trap 2
	ds_read_b64 v[2:3], v0
	v_accvgpr_read_b32 v4, a20
	v_add_co_u32_e32 v40, vcc, v40, v4
	v_accvgpr_read_b32 v1, a21
	v_addc_co_u32_e32 v41, vcc, v41, v1, vcc
	s_waitcnt lgkmcnt(0)
	v_cmp_lt_u64_e32 vcc, v[2:3], v[40:41]
	s_and_saveexec_b64 s[40:41], vcc
	s_cbranch_execz .LBB2_136
; %bb.128:                              ;   in Loop: Header=BB2_66 Depth=2
	s_mov_b32 s53, 0
	s_mov_b64 s[42:43], 0
                                        ; implicit-def: $sgpr44_sgpr45
                                        ; implicit-def: $sgpr46_sgpr47
	s_branch .LBB2_130
.LBB2_129:                              ;   in Loop: Header=BB2_130 Depth=3
	s_or_b64 exec, exec, s[50:51]
	s_and_b64 vcc, exec, vcc
	s_or_b64 s[42:43], vcc, s[42:43]
	s_andn2_b64 vcc, s[44:45], exec
	s_and_b64 s[44:45], s[46:47], exec
	s_or_b64 s[44:45], vcc, s[44:45]
	s_andn2_b64 exec, exec, s[42:43]
	s_cbranch_execz .LBB2_134
.LBB2_130:                              ;   Parent Loop BB2_21 Depth=1
                                        ;     Parent Loop BB2_66 Depth=2
                                        ; =>    This Inner Loop Header: Depth=3
	s_add_i32 s53, s53, 1
	s_cmpk_lg_i32 s53, 0x2710
	s_cselect_b64 s[48:49], -1, 0
	s_and_b64 vcc, exec, s[48:49]
                                        ; implicit-def: $sgpr50_sgpr51
	s_cbranch_vccnz .LBB2_132
; %bb.131:                              ;   in Loop: Header=BB2_130 Depth=3
	s_trap 2
	ds_read_b64 v[2:3], v0
	s_andn2_b64 s[48:49], s[48:49], exec
	s_mov_b32 s53, 0
	s_mov_b64 s[50:51], -1
	s_waitcnt lgkmcnt(0)
	flat_load_dword v1, v[2:3] glc
	s_waitcnt vmcnt(0) lgkmcnt(0)
	buffer_invl2
	buffer_wbinvl1_vol
	v_cmp_eq_u32_e32 vcc, 0, v1
	s_and_b64 vcc, vcc, exec
	s_or_b64 s[48:49], s[48:49], vcc
.LBB2_132:                              ;   in Loop: Header=BB2_130 Depth=3
	s_andn2_b64 s[46:47], s[46:47], exec
	s_and_b64 s[50:51], s[50:51], exec
	s_mov_b64 vcc, -1
	s_or_b64 s[46:47], s[46:47], s[50:51]
	s_and_saveexec_b64 s[50:51], s[48:49]
	s_cbranch_execz .LBB2_129
; %bb.133:                              ;   in Loop: Header=BB2_130 Depth=3
	s_sleep 1
	s_trap 2
	ds_read_b64 v[2:3], v0
	s_andn2_b64 s[46:47], s[46:47], exec
	s_waitcnt lgkmcnt(0)
	v_cmp_ge_u64_e32 vcc, v[2:3], v[40:41]
	s_orn2_b64 vcc, vcc, exec
	s_branch .LBB2_129
.LBB2_134:                              ;   in Loop: Header=BB2_66 Depth=2
	s_or_b64 exec, exec, s[42:43]
	s_and_saveexec_b64 vcc, s[44:45]
	s_xor_b64 vcc, exec, vcc
	s_cbranch_execz .LBB2_136
; %bb.135:                              ;   in Loop: Header=BB2_66 Depth=2
	v_mov_b32_e32 v1, 1
	ds_write_b32 v0, v1
	s_trap 2
.LBB2_136:                              ;   in Loop: Header=BB2_66 Depth=2
	s_or_b64 exec, exec, s[40:41]
	;;#ASMSTART
	s_wakeup
	;;#ASMEND
.LBB2_137:                              ;   in Loop: Header=BB2_66 Depth=2
	s_or_b64 exec, exec, s[38:39]
.LBB2_138:                              ;   in Loop: Header=BB2_66 Depth=2
	s_andn2_saveexec_b64 vcc, s[36:37]
	s_cbranch_execz .LBB2_140
; %bb.139:                              ;   in Loop: Header=BB2_66 Depth=2
	s_waitcnt vmcnt(0) lgkmcnt(0)
	buffer_wbinvl1_vol
	s_barrier
.LBB2_140:                              ;   in Loop: Header=BB2_66 Depth=2
	s_or_b64 exec, exec, vcc
	s_or_b64 exec, exec, s[18:19]
	s_and_saveexec_b64 s[18:19], s[14:15]
	s_cbranch_execnz .LBB2_71
	s_branch .LBB2_72
.LBB2_141:                              ;   in Loop: Header=BB2_21 Depth=1
	v_pk_mov_b32 v[16:17], v[10:11], v[10:11] op_sel:[0,1]
	s_and_saveexec_b64 s[18:19], s[16:17]
	s_cbranch_execnz .LBB2_143
	s_branch .LBB2_162
.LBB2_142:                              ;   in Loop: Header=BB2_21 Depth=1
	v_accvgpr_read_b32 v59, a3
	v_accvgpr_read_b32 v33, a7
	;; [unrolled: 1-line block ×5, first 2 shown]
	v_pk_mov_b32 v[16:17], v[10:11], v[10:11] op_sel:[0,1]
	v_accvgpr_read_b32 v58, a2
	v_accvgpr_read_b32 v32, a6
	;; [unrolled: 1-line block ×6, first 2 shown]
	s_and_saveexec_b64 s[18:19], s[16:17]
	s_cbranch_execz .LBB2_162
.LBB2_143:                              ;   in Loop: Header=BB2_21 Depth=1
	flat_load_dword v4, v[22:23]
	s_waitcnt vmcnt(0) lgkmcnt(0)
	v_accvgpr_read_b32 v2, a8
	v_accvgpr_read_b32 v3, a9
	v_add_co_u32_e32 v5, vcc, v2, v8
	v_and_b32_e32 v2, 7, v36
	v_addc_co_u32_e32 v6, vcc, v3, v9, vcc
	v_accvgpr_read_b32 v0, a26
	v_mul_lo_u32 v2, v2, v62
	v_add_co_u32_e32 v0, vcc, v0, v8
	v_accvgpr_read_b32 v1, a27
	v_ashrrev_i32_e32 v3, 31, v2
	v_addc_co_u32_e32 v1, vcc, v1, v9, vcc
	v_lshlrev_b64 v[2:3], 4, v[2:3]
	v_accvgpr_read_b32 v8, a14
	v_accvgpr_read_b32 v9, a15
	v_add_co_u32_e32 v44, vcc, v8, v2
	v_addc_co_u32_e32 v56, vcc, v9, v3, vcc
	v_accvgpr_write_b32 a30, v42
	v_accvgpr_write_b32 a31, v43
	v_add_u32_e32 v21, 1, v36
	s_mov_b64 s[36:37], 0
	v_mov_b32_e32 v18, v24
	v_ashrrev_i32_e32 v7, 31, v4
	v_mul_lo_u32 v8, v47, v4
	v_mad_u64_u32 v[2:3], s[16:17], v46, v4, 0
	v_mul_lo_u32 v4, v46, v7
	v_add3_u32 v3, v3, v4, v8
	v_lshlrev_b64 v[2:3], 3, v[2:3]
	v_add_co_u32_e32 v2, vcc, v5, v2
	v_addc_co_u32_e32 v3, vcc, v6, v3, vcc
	v_accvgpr_read_b32 v4, a22
	v_accvgpr_read_b32 v5, a23
	v_add_co_u32_e32 v10, vcc, v2, v4
	v_addc_co_u32_e32 v11, vcc, v3, v5, vcc
	s_branch .LBB2_145
.LBB2_144:                              ;   in Loop: Header=BB2_145 Depth=2
	v_add_co_u32_e32 v10, vcc, v10, v28
	v_addc_co_u32_e32 v11, vcc, v11, v29, vcc
	v_add_co_u32_e32 v0, vcc, v0, v28
	v_addc_co_u32_e32 v1, vcc, v1, v29, vcc
	v_sub_u32_e32 v34, v34, v20
	v_cmp_gt_i32_e32 vcc, 1, v34
	s_or_b64 s[36:37], vcc, s[36:37]
	v_add_u32_e32 v18, v18, v20
	s_andn2_b64 exec, exec, s[36:37]
	s_cbranch_execz .LBB2_161
.LBB2_145:                              ;   Parent Loop BB2_21 Depth=1
                                        ; =>  This Loop Header: Depth=2
                                        ;       Child Loop BB2_149 Depth 3
	v_ashrrev_i32_e32 v19, 31, v18
	v_lshlrev_b64 v[2:3], 4, v[18:19]
	v_add_co_u32_e32 v42, vcc, v44, v2
	v_addc_co_u32_e32 v43, vcc, v56, v3, vcc
	global_load_dwordx2 v[6:7], v[10:11], off glc slc
	global_load_dwordx4 v[2:5], v[42:43], off glc slc
	v_cmp_eq_u32_e32 vcc, 0, v31
	s_and_saveexec_b64 s[38:39], vcc
	s_cbranch_execz .LBB2_157
; %bb.146:                              ;   in Loop: Header=BB2_145 Depth=2
	s_waitcnt vmcnt(0)
	v_cmp_ne_u32_e32 vcc, v21, v3
	v_cmp_ne_u32_e64 s[16:17], v21, v5
	s_or_b64 s[16:17], vcc, s[16:17]
	v_mov_b32_e32 v31, 0
	s_and_saveexec_b64 s[40:41], s[16:17]
	s_cbranch_execz .LBB2_156
; %bb.147:                              ;   in Loop: Header=BB2_145 Depth=2
	s_mov_b32 s46, 1
	s_mov_b64 s[42:43], 0
	v_mov_b32_e32 v31, 0
	s_branch .LBB2_149
.LBB2_148:                              ;   in Loop: Header=BB2_149 Depth=3
	s_or_b64 exec, exec, s[44:45]
	s_and_b64 s[16:17], exec, s[16:17]
	s_or_b64 s[42:43], s[16:17], s[42:43]
	s_andn2_b64 exec, exec, s[42:43]
	s_cbranch_execz .LBB2_155
.LBB2_149:                              ;   Parent Loop BB2_21 Depth=1
                                        ;     Parent Loop BB2_145 Depth=2
                                        ; =>    This Inner Loop Header: Depth=3
	global_load_dwordx4 v[2:5], v[42:43], off glc slc
	s_add_i32 s46, s46, 1
	s_cmpk_lg_i32 s46, 0x2710
	s_cbranch_scc1 .LBB2_153
; %bb.150:                              ;   in Loop: Header=BB2_149 Depth=3
	s_trap 2
	ds_read_b64 v[8:9], v0
	s_waitcnt vmcnt(0) lgkmcnt(0)
	flat_load_dword v8, v[8:9] glc
	s_waitcnt vmcnt(0) lgkmcnt(0)
	buffer_invl2
	buffer_wbinvl1_vol
	v_cmp_ne_u32_e32 vcc, 0, v8
	s_and_saveexec_b64 s[16:17], vcc
	s_cbranch_execz .LBB2_152
; %bb.151:                              ;   in Loop: Header=BB2_149 Depth=3
	v_mov_b32_e32 v31, 1
	ds_write_b32 v0, v8
	s_trap 2
.LBB2_152:                              ;   in Loop: Header=BB2_149 Depth=3
	s_or_b64 exec, exec, s[16:17]
	s_mov_b32 s46, 0
	v_mov_b32_e32 v8, v31
	v_cmp_eq_u32_e32 vcc, 0, v8
	s_mov_b64 s[16:17], -1
	s_and_saveexec_b64 s[44:45], vcc
	s_cbranch_execz .LBB2_148
	s_branch .LBB2_154
.LBB2_153:                              ;   in Loop: Header=BB2_149 Depth=3
	v_mov_b32_e32 v8, 0
	v_cmp_eq_u32_e32 vcc, 0, v8
	s_mov_b64 s[16:17], -1
	s_and_saveexec_b64 s[44:45], vcc
	s_cbranch_execz .LBB2_148
.LBB2_154:                              ;   in Loop: Header=BB2_149 Depth=3
	s_waitcnt vmcnt(0)
	v_cmp_eq_u32_e32 vcc, v21, v3
	v_cmp_eq_u32_e64 s[16:17], v21, v5
	s_and_b64 s[16:17], vcc, s[16:17]
	s_orn2_b64 s[16:17], s[16:17], exec
	s_branch .LBB2_148
.LBB2_155:                              ;   in Loop: Header=BB2_145 Depth=2
	s_or_b64 exec, exec, s[42:43]
.LBB2_156:                              ;   in Loop: Header=BB2_145 Depth=2
	s_or_b64 exec, exec, s[40:41]
.LBB2_157:                              ;   in Loop: Header=BB2_145 Depth=2
	s_or_b64 exec, exec, s[38:39]
	s_waitcnt vmcnt(0)
	v_mov_b32_e32 v3, v45
	v_mov_b32_e32 v5, v4
	v_mul_lo_u32 v4, v6, v27
	v_mul_lo_u32 v7, v7, v26
	v_mad_u64_u32 v[2:3], s[16:17], v6, v26, v[2:3]
	v_add3_u32 v3, v7, v3, v4
	v_add_co_u32_e32 v2, vcc, 0, v2
	v_addc_co_u32_e32 v3, vcc, v3, v5, vcc
	v_mov_b32_e32 v4, v30
	;;#ASMSTART
	;;#ASMEND
	v_cmp_ne_u32_e32 vcc, 0, v4
	s_cmp_lg_u64 vcc, exec
	s_mov_b64 s[16:17], -1
	s_cbranch_scc0 .LBB2_159
; %bb.158:                              ;   in Loop: Header=BB2_145 Depth=2
	flat_store_dwordx2 v[0:1], v[2:3]
	s_mov_b64 s[16:17], 0
.LBB2_159:                              ;   in Loop: Header=BB2_145 Depth=2
	s_andn2_b64 vcc, exec, s[16:17]
	s_cbranch_vccnz .LBB2_144
; %bb.160:                              ;   in Loop: Header=BB2_145 Depth=2
	global_store_dwordx2 v[0:1], v[2:3], off
	s_branch .LBB2_144
.LBB2_161:                              ;   in Loop: Header=BB2_21 Depth=1
	s_or_b64 exec, exec, s[36:37]
	v_accvgpr_read_b32 v59, a3
	v_accvgpr_read_b32 v33, a7
	v_accvgpr_read_b32 v43, a31
	v_accvgpr_read_b32 v58, a2
	v_accvgpr_read_b32 v32, a6
	v_accvgpr_read_b32 v42, a30
.LBB2_162:                              ;   in Loop: Header=BB2_21 Depth=1
	s_or_b64 exec, exec, s[18:19]
	s_and_saveexec_b64 s[16:17], s[10:11]
	s_cbranch_execnz .LBB2_164
; %bb.163:                              ;   in Loop: Header=BB2_21 Depth=1
	s_or_b64 exec, exec, s[16:17]
	s_and_saveexec_b64 s[16:17], s[14:15]
	s_cbranch_execz .LBB2_20
	s_branch .LBB2_182
.LBB2_164:                              ;   in Loop: Header=BB2_21 Depth=1
	s_and_saveexec_b64 s[18:19], s[28:29]
	s_xor_b64 s[18:19], exec, s[18:19]
	s_cbranch_execz .LBB2_179
; %bb.165:                              ;   in Loop: Header=BB2_21 Depth=1
	s_and_saveexec_b64 s[36:37], s[12:13]
	s_cbranch_execz .LBB2_178
; %bb.166:                              ;   in Loop: Header=BB2_21 Depth=1
	s_mov_b64 s[40:41], exec
	v_mbcnt_lo_u32_b32 v0, s40, 0
	v_mbcnt_hi_u32_b32 v0, s41, v0
	v_cmp_eq_u32_e32 vcc, 0, v0
	s_waitcnt vmcnt(0) lgkmcnt(0)
	buffer_wbinvl1_vol
	s_and_saveexec_b64 s[38:39], vcc
	s_cbranch_execz .LBB2_168
; %bb.167:                              ;   in Loop: Header=BB2_21 Depth=1
	s_bcnt1_i32_b64 vcc_lo, s[40:41]
	v_mov_b32_e32 v44, vcc_lo
	ds_add_u64 v0, v[44:45]
	s_trap 2
.LBB2_168:                              ;   in Loop: Header=BB2_21 Depth=1
	s_or_b64 exec, exec, s[38:39]
	s_trap 2
	ds_read_b64 v[0:1], v0
	v_accvgpr_read_b32 v2, a20
	v_add_co_u32_e32 v40, vcc, v40, v2
	v_accvgpr_read_b32 v3, a21
	v_addc_co_u32_e32 v41, vcc, v41, v3, vcc
	s_waitcnt lgkmcnt(0)
	v_cmp_lt_u64_e32 vcc, v[0:1], v[40:41]
	s_and_saveexec_b64 s[38:39], vcc
	s_cbranch_execz .LBB2_177
; %bb.169:                              ;   in Loop: Header=BB2_21 Depth=1
	s_mov_b32 s50, 0
	s_mov_b64 s[40:41], 0
                                        ; implicit-def: $sgpr42_sgpr43
                                        ; implicit-def: $sgpr44_sgpr45
	s_branch .LBB2_171
.LBB2_170:                              ;   in Loop: Header=BB2_171 Depth=2
	s_or_b64 exec, exec, s[48:49]
	s_and_b64 vcc, exec, vcc
	s_or_b64 s[40:41], vcc, s[40:41]
	s_andn2_b64 vcc, s[42:43], exec
	s_and_b64 s[42:43], s[44:45], exec
	s_or_b64 s[42:43], vcc, s[42:43]
	s_andn2_b64 exec, exec, s[40:41]
	s_cbranch_execz .LBB2_175
.LBB2_171:                              ;   Parent Loop BB2_21 Depth=1
                                        ; =>  This Inner Loop Header: Depth=2
	s_add_i32 s50, s50, 1
	s_cmpk_lg_i32 s50, 0x2710
	s_cselect_b64 s[46:47], -1, 0
	s_and_b64 vcc, exec, s[46:47]
                                        ; implicit-def: $sgpr48_sgpr49
	s_cbranch_vccnz .LBB2_173
; %bb.172:                              ;   in Loop: Header=BB2_171 Depth=2
	s_trap 2
	ds_read_b64 v[0:1], v0
	s_andn2_b64 s[46:47], s[46:47], exec
	s_mov_b32 s50, 0
	s_mov_b64 s[48:49], -1
	s_waitcnt lgkmcnt(0)
	flat_load_dword v0, v[0:1] glc
	s_waitcnt vmcnt(0) lgkmcnt(0)
	buffer_invl2
	buffer_wbinvl1_vol
	v_cmp_eq_u32_e32 vcc, 0, v0
	s_and_b64 vcc, vcc, exec
	s_or_b64 s[46:47], s[46:47], vcc
.LBB2_173:                              ;   in Loop: Header=BB2_171 Depth=2
	s_andn2_b64 s[44:45], s[44:45], exec
	s_and_b64 s[48:49], s[48:49], exec
	s_mov_b64 vcc, -1
	s_or_b64 s[44:45], s[44:45], s[48:49]
	s_and_saveexec_b64 s[48:49], s[46:47]
	s_cbranch_execz .LBB2_170
; %bb.174:                              ;   in Loop: Header=BB2_171 Depth=2
	s_sleep 1
	s_trap 2
	ds_read_b64 v[0:1], v0
	s_andn2_b64 s[44:45], s[44:45], exec
	s_waitcnt lgkmcnt(0)
	v_cmp_ge_u64_e32 vcc, v[0:1], v[40:41]
	s_orn2_b64 vcc, vcc, exec
	s_branch .LBB2_170
.LBB2_175:                              ;   in Loop: Header=BB2_21 Depth=1
	s_or_b64 exec, exec, s[40:41]
	s_and_saveexec_b64 vcc, s[42:43]
	s_xor_b64 vcc, exec, vcc
	s_cbranch_execz .LBB2_177
; %bb.176:                              ;   in Loop: Header=BB2_21 Depth=1
	v_mov_b32_e32 v0, 1
	ds_write_b32 v0, v0
	s_trap 2
.LBB2_177:                              ;   in Loop: Header=BB2_21 Depth=1
	s_or_b64 exec, exec, s[38:39]
	;;#ASMSTART
	s_wakeup
	;;#ASMEND
.LBB2_178:                              ;   in Loop: Header=BB2_21 Depth=1
	s_or_b64 exec, exec, s[36:37]
.LBB2_179:                              ;   in Loop: Header=BB2_21 Depth=1
	s_andn2_saveexec_b64 s[18:19], s[18:19]
	s_cbranch_execz .LBB2_181
; %bb.180:                              ;   in Loop: Header=BB2_21 Depth=1
	s_waitcnt vmcnt(0) lgkmcnt(0)
	buffer_wbinvl1_vol
	s_barrier
.LBB2_181:                              ;   in Loop: Header=BB2_21 Depth=1
	s_or_b64 exec, exec, s[18:19]
	s_or_b64 exec, exec, s[16:17]
	s_and_saveexec_b64 s[16:17], s[14:15]
	s_cbranch_execz .LBB2_20
.LBB2_182:                              ;   in Loop: Header=BB2_21 Depth=1
	v_add_co_u32_e32 v48, vcc, 1, v48
	v_accvgpr_read_b32 v0, a16
	v_addc_co_u32_e32 v49, vcc, 0, v49, vcc
	v_accvgpr_read_b32 v1, a17
	flat_store_dwordx2 v[0:1], v[48:49]
	s_branch .LBB2_20
.LBB2_183:
	s_or_b64 exec, exec, s[26:27]
	v_accvgpr_read_b32 v19, a11
	v_accvgpr_read_b32 v29, a13
	;; [unrolled: 1-line block ×6, first 2 shown]
.LBB2_184:
	s_or_b64 exec, exec, s[24:25]
; %bb.185:
	s_and_saveexec_b64 s[6:7], s[22:23]
	s_cbranch_execnz .LBB2_188
; %bb.186:
	s_or_b64 exec, exec, s[6:7]
	s_and_saveexec_b64 s[6:7], s[4:5]
	s_cbranch_execnz .LBB2_189
.LBB2_187:
	s_or_b64 exec, exec, s[6:7]
	v_cmp_ne_u32_e32 vcc, 64, v20
	s_and_saveexec_b64 s[4:5], vcc
	s_cbranch_execnz .LBB2_190
	s_branch .LBB2_207
.LBB2_188:
	s_waitcnt vmcnt(0) lgkmcnt(0)
	flat_store_dwordx2 v[28:29], v[48:49] offset:104
	s_or_b64 exec, exec, s[6:7]
	s_and_saveexec_b64 s[6:7], s[4:5]
	s_cbranch_execz .LBB2_187
.LBB2_189:
	s_waitcnt vmcnt(0) lgkmcnt(0)
	flat_store_dwordx2 v[18:19], v[14:15] offset:104
	s_or_b64 exec, exec, s[6:7]
	v_cmp_ne_u32_e32 vcc, 64, v20
	s_and_saveexec_b64 s[4:5], vcc
	s_cbranch_execz .LBB2_207
.LBB2_190:
	v_cmp_ne_u32_sdwa s[6:7], v11, v20 src0_sel:WORD_0 src1_sel:DWORD
	s_and_saveexec_b64 s[8:9], s[6:7]
	s_xor_b64 s[6:7], exec, s[8:9]
	s_cbranch_execz .LBB2_205
; %bb.191:
	v_and_b32_e32 v0, 63, v31
	v_cmp_eq_u32_e32 vcc, 0, v0
	s_and_saveexec_b64 s[8:9], vcc
	s_cbranch_execz .LBB2_204
; %bb.192:
	s_mov_b64 s[12:13], exec
	v_mbcnt_lo_u32_b32 v0, s12, 0
	v_mbcnt_hi_u32_b32 v0, s13, v0
	v_cmp_eq_u32_e32 vcc, 0, v0
	s_waitcnt vmcnt(0) lgkmcnt(0)
	buffer_wbinvl1_vol
	s_and_saveexec_b64 s[10:11], vcc
	s_cbranch_execz .LBB2_194
; %bb.193:
	s_bcnt1_i32_b64 s12, s[12:13]
	v_mov_b32_e32 v0, s12
	v_mov_b32_e32 v1, 0
	ds_add_u64 v0, v[0:1]
	s_trap 2
.LBB2_194:
	s_or_b64 exec, exec, s[10:11]
	v_ashrrev_i32_e32 v0, 31, v20
	v_lshrrev_b32_e32 v0, 26, v0
	v_add_u32_e32 v0, v20, v0
	v_ashrrev_i32_e32 v0, 6, v0
	s_trap 2
	ds_read_b64 v[2:3], v0
	v_ashrrev_i32_e32 v1, 31, v0
	v_add_co_u32_e32 v0, vcc, v40, v0
	v_addc_co_u32_e32 v1, vcc, v41, v1, vcc
	s_waitcnt lgkmcnt(0)
	v_cmp_lt_u64_e32 vcc, v[2:3], v[0:1]
	s_and_saveexec_b64 s[10:11], vcc
	s_cbranch_execz .LBB2_203
; %bb.195:
	s_mov_b32 s24, 0
	s_mov_b64 s[12:13], 0
                                        ; implicit-def: $sgpr14_sgpr15
                                        ; implicit-def: $sgpr16_sgpr17
	s_branch .LBB2_197
.LBB2_196:                              ;   in Loop: Header=BB2_197 Depth=1
	s_or_b64 exec, exec, s[22:23]
	s_and_b64 s[18:19], exec, s[20:21]
	s_or_b64 s[12:13], s[18:19], s[12:13]
	s_andn2_b64 s[14:15], s[14:15], exec
	s_and_b64 s[18:19], s[16:17], exec
	s_or_b64 s[14:15], s[14:15], s[18:19]
	s_andn2_b64 exec, exec, s[12:13]
	s_cbranch_execz .LBB2_201
.LBB2_197:                              ; =>This Inner Loop Header: Depth=1
	s_add_i32 s24, s24, 1
	s_cmpk_lg_i32 s24, 0x2710
	s_cselect_b64 s[18:19], -1, 0
	s_and_b64 vcc, exec, s[18:19]
                                        ; implicit-def: $sgpr22_sgpr23
	s_cbranch_vccnz .LBB2_199
; %bb.198:                              ;   in Loop: Header=BB2_197 Depth=1
	s_trap 2
	ds_read_b64 v[2:3], v0
	s_andn2_b64 s[18:19], s[18:19], exec
	s_mov_b32 s24, 0
	s_mov_b64 s[22:23], -1
	s_waitcnt lgkmcnt(0)
	flat_load_dword v2, v[2:3] glc
	s_waitcnt vmcnt(0) lgkmcnt(0)
	buffer_invl2
	buffer_wbinvl1_vol
	v_cmp_eq_u32_e32 vcc, 0, v2
	s_and_b64 s[20:21], vcc, exec
	s_or_b64 s[18:19], s[18:19], s[20:21]
.LBB2_199:                              ;   in Loop: Header=BB2_197 Depth=1
	s_andn2_b64 s[16:17], s[16:17], exec
	s_and_b64 s[22:23], s[22:23], exec
	s_mov_b64 s[20:21], -1
	s_or_b64 s[16:17], s[16:17], s[22:23]
	s_and_saveexec_b64 s[22:23], s[18:19]
	s_cbranch_execz .LBB2_196
; %bb.200:                              ;   in Loop: Header=BB2_197 Depth=1
	s_sleep 1
	s_trap 2
	ds_read_b64 v[2:3], v0
	s_andn2_b64 s[16:17], s[16:17], exec
	s_waitcnt lgkmcnt(0)
	v_cmp_ge_u64_e32 vcc, v[2:3], v[0:1]
	s_orn2_b64 s[20:21], vcc, exec
	s_branch .LBB2_196
.LBB2_201:
	s_or_b64 exec, exec, s[12:13]
	s_and_saveexec_b64 s[12:13], s[14:15]
	s_xor_b64 s[12:13], exec, s[12:13]
	s_cbranch_execz .LBB2_203
; %bb.202:
	v_mov_b32_e32 v0, 1
	ds_write_b32 v0, v0
	s_trap 2
.LBB2_203:
	s_or_b64 exec, exec, s[10:11]
	;;#ASMSTART
	s_wakeup
	;;#ASMEND
.LBB2_204:
	s_or_b64 exec, exec, s[8:9]
.LBB2_205:
	s_andn2_saveexec_b64 s[6:7], s[6:7]
	s_cbranch_execz .LBB2_207
; %bb.206:
	s_waitcnt vmcnt(0) lgkmcnt(0)
	buffer_wbinvl1_vol
	s_barrier
.LBB2_207:
	s_or_b64 exec, exec, s[4:5]
	buffer_load_dword a41, off, s[0:3], s32 ; 4-byte Folded Reload
	buffer_load_dword a40, off, s[0:3], s32 offset:4 ; 4-byte Folded Reload
	buffer_load_dword a38, off, s[0:3], s32 offset:8 ; 4-byte Folded Reload
	;; [unrolled: 1-line block ×23, first 2 shown]
	v_readlane_b32 s30, v63, 20
	v_readlane_b32 s31, v63, 21
	;; [unrolled: 1-line block ×22, first 2 shown]
	s_or_saveexec_b64 s[4:5], -1
	buffer_load_dword v63, off, s[0:3], s32 offset:96 ; 4-byte Folded Reload
	s_mov_b64 exec, s[4:5]
	s_waitcnt vmcnt(0) lgkmcnt(0)
	s_setpc_b64 s[30:31]
.Lfunc_end2:
	.size	_ZN12_GLOBAL__N_17runRingIm13FuncPreMulSumImE7ProtoLLLi0ELi2ELi0EEEviiP15ncclDevWorkColl, .Lfunc_end2-_ZN12_GLOBAL__N_17runRingIm13FuncPreMulSumImE7ProtoLLLi0ELi2ELi0EEEviiP15ncclDevWorkColl
                                        ; -- End function
	.section	.AMDGPU.csdata,"",@progbits
; Function info:
; codeLenInByte = 7800
; NumSgprs: 58
; NumVgprs: 64
; NumAgprs: 42
; TotalNumVgprs: 106
; ScratchSize: 104
; MemoryBound: 0
	.text
	.p2align	2                               ; -- Begin function _Z53ncclDevFunc_ReduceScatter_RING_LL_PreMulSum_u64_0_0_2v
	.type	_Z53ncclDevFunc_ReduceScatter_RING_LL_PreMulSum_u64_0_0_2v,@function
_Z53ncclDevFunc_ReduceScatter_RING_LL_PreMulSum_u64_0_0_2v: ; @_Z53ncclDevFunc_ReduceScatter_RING_LL_PreMulSum_u64_0_0_2v
; %bb.0:
	s_waitcnt vmcnt(0) expcnt(0) lgkmcnt(0)
	s_mov_b32 s4, s33
	s_mov_b32 s33, s32
	s_or_saveexec_b64 s[6:7], -1
	buffer_store_dword v43, off, s[0:3], s33 offset:16 ; 4-byte Folded Spill
	s_mov_b64 exec, s[6:7]
	v_writelane_b32 v43, s4, 30
	s_addk_i32 s32, 0x800
	buffer_store_dword v40, off, s[0:3], s33 offset:12 ; 4-byte Folded Spill
	buffer_store_dword v41, off, s[0:3], s33 offset:8 ; 4-byte Folded Spill
	buffer_store_dword v42, off, s[0:3], s33 offset:4 ; 4-byte Folded Spill
	buffer_store_dword v63, off, s[0:3], s33 ; 4-byte Folded Spill
	v_writelane_b32 v43, s34, 0
	v_writelane_b32 v43, s35, 1
	;; [unrolled: 1-line block ×30, first 2 shown]
	s_trap 2
	ds_read_b32 v0, v0
	v_mov_b32_e32 v40, v31
	v_and_b32_e32 v41, 0x3ff, v40
	s_mov_b32 s56, s12
	s_mov_b64 s[54:55], s[8:9]
	s_waitcnt lgkmcnt(0)
	v_cmp_lt_i32_e32 vcc, v41, v0
	s_and_saveexec_b64 s[4:5], vcc
	s_cbranch_execz .LBB3_5
; %bb.1:
	s_load_dword s6, s[54:55], 0x0
	v_mov_b32_e32 v1, 0
	v_mov_b32_e32 v4, v41
                                        ; implicit-def: $vgpr2
	s_waitcnt lgkmcnt(0)
	s_cmp_lt_u32 s56, s6
	s_cselect_b32 s6, 12, 18
	s_add_u32 s6, s54, s6
	s_addc_u32 s7, s55, 0
	global_load_ushort v1, v1, s[6:7]
	s_trap 2
	ds_read_b32 v3, v0
	s_mov_b64 s[6:7], 0
	s_waitcnt vmcnt(0) lgkmcnt(0)
	v_mul_lo_u32 v3, v3, v1
	s_branch .LBB3_3
.LBB3_2:                                ;   in Loop: Header=BB3_3 Depth=1
	s_or_b64 exec, exec, s[8:9]
	v_add_u32_e32 v4, v4, v1
	v_cmp_ge_i32_e32 vcc, v4, v0
	s_or_b64 s[6:7], vcc, s[6:7]
	v_add_u32_e32 v2, v2, v3
	s_andn2_b64 exec, exec, s[6:7]
	s_cbranch_execz .LBB3_5
.LBB3_3:                                ; =>This Inner Loop Header: Depth=1
	ds_read_b32 v5, v2
	s_waitcnt lgkmcnt(0)
	v_and_b32_e32 v5, 0x1000000, v5
	v_cmp_ne_u32_e32 vcc, 0, v5
	s_and_saveexec_b64 s[8:9], vcc
	s_cbranch_execz .LBB3_2
; %bb.4:                                ;   in Loop: Header=BB3_3 Depth=1
	ds_read_b64 v[6:7], v2 offset:104
	s_waitcnt lgkmcnt(0)
	flat_load_dwordx2 v[6:7], v[6:7]
	s_waitcnt vmcnt(0) lgkmcnt(0)
	ds_write_b64 v2, v[6:7] offset:104
	s_branch .LBB3_2
.LBB3_5:
	s_or_b64 exec, exec, s[4:5]
	s_waitcnt lgkmcnt(0)
	s_barrier
	s_trap 2
	ds_read_b32 v0, v0
	s_waitcnt lgkmcnt(0)
	v_cmp_gt_i32_e32 vcc, 1, v0
	s_cbranch_vccnz .LBB3_13
; %bb.6:
	s_mov_b32 s57, 0
	s_mov_b64 s[58:59], src_shared_base
	v_mov_b32_e32 v42, 6
	s_branch .LBB3_8
.LBB3_7:                                ;   in Loop: Header=BB3_8 Depth=1
	s_or_b64 exec, exec, s[60:61]
	s_trap 2
	ds_read_b32 v0, v0
	s_add_i32 s57, s57, 1
	s_waitcnt lgkmcnt(0)
	v_cmp_lt_i32_e32 vcc, s57, v0
	s_cbranch_vccz .LBB3_13
.LBB3_8:                                ; =>This Inner Loop Header: Depth=1
	s_trap 2
	ds_read_b32 v0, v0
	s_cmp_eq_u32 s57, 0
	s_cbranch_scc1 .LBB3_11
; %bb.9:                                ;   in Loop: Header=BB3_8 Depth=1
	s_trap 2
	s_waitcnt lgkmcnt(0)
	ds_read_b32 v1, v0
	s_waitcnt lgkmcnt(0)
	v_xor_b32_e32 v1, v1, v0
	v_and_b32_e32 v1, 0xff0000, v1
	v_cmp_eq_u32_e32 vcc, 0, v1
	s_cbranch_vccnz .LBB3_11
; %bb.10:                               ;   in Loop: Header=BB3_8 Depth=1
	s_barrier
	ds_read_b32 v0, v0
.LBB3_11:                               ;   in Loop: Header=BB3_8 Depth=1
	s_waitcnt lgkmcnt(0)
	v_lshlrev_b32_sdwa v1, v42, v0 dst_sel:DWORD dst_unused:UNUSED_PAD src0_sel:DWORD src1_sel:BYTE_2
	v_cmp_lt_u32_e32 vcc, v41, v1
	s_and_saveexec_b64 s[60:61], vcc
	s_cbranch_execz .LBB3_7
; %bb.12:                               ;   in Loop: Header=BB3_8 Depth=1
	s_mov_b64 s[8:9], s[54:55]
	s_mov_b32 s12, s56
	v_mov_b32_e32 v31, v40
	v_mov_b32_e32 v0, v41
	;; [unrolled: 1-line block ×3, first 2 shown]
	s_getpc_b64 s[4:5]
	s_add_u32 s4, s4, _ZN12_GLOBAL__N_17runRingIm13FuncPreMulSumImE7ProtoLLLi0ELi2ELi0EEEviiP15ncclDevWorkColl@rel32@lo+4
	s_addc_u32 s5, s5, _ZN12_GLOBAL__N_17runRingIm13FuncPreMulSumImE7ProtoLLLi0ELi2ELi0EEEviiP15ncclDevWorkColl@rel32@hi+12
	s_swappc_b64 s[30:31], s[4:5]
	s_branch .LBB3_7
.LBB3_13:
	buffer_load_dword v63, off, s[0:3], s33 ; 4-byte Folded Reload
	buffer_load_dword v42, off, s[0:3], s33 offset:4 ; 4-byte Folded Reload
	buffer_load_dword v41, off, s[0:3], s33 offset:8 ; 4-byte Folded Reload
	;; [unrolled: 1-line block ×3, first 2 shown]
	v_readlane_b32 s30, v43, 28
	v_readlane_b32 s31, v43, 29
	;; [unrolled: 1-line block ×31, first 2 shown]
	s_or_saveexec_b64 s[6:7], -1
	buffer_load_dword v43, off, s[0:3], s33 offset:16 ; 4-byte Folded Reload
	s_mov_b64 exec, s[6:7]
	s_addk_i32 s32, 0xf800
	s_mov_b32 s33, s4
	s_waitcnt vmcnt(0)
	s_setpc_b64 s[30:31]
.Lfunc_end3:
	.size	_Z53ncclDevFunc_ReduceScatter_RING_LL_PreMulSum_u64_0_0_2v, .Lfunc_end3-_Z53ncclDevFunc_ReduceScatter_RING_LL_PreMulSum_u64_0_0_2v
                                        ; -- End function
	.section	.AMDGPU.csdata,"",@progbits
; Function info:
; codeLenInByte = 1072
; NumSgprs: 66
; NumVgprs: 64
; NumAgprs: 42
; TotalNumVgprs: 106
; ScratchSize: 136
; MemoryBound: 0
	.text
	.p2align	2                               ; -- Begin function _ZN12_GLOBAL__N_17runRingIm13FuncPreMulSumImE7ProtoLLLi0ELi4ELi0EEEviiP15ncclDevWorkColl
	.type	_ZN12_GLOBAL__N_17runRingIm13FuncPreMulSumImE7ProtoLLLi0ELi4ELi0EEEviiP15ncclDevWorkColl,@function
_ZN12_GLOBAL__N_17runRingIm13FuncPreMulSumImE7ProtoLLLi0ELi4ELi0EEEviiP15ncclDevWorkColl: ; @_ZN12_GLOBAL__N_17runRingIm13FuncPreMulSumImE7ProtoLLLi0ELi4ELi0EEEviiP15ncclDevWorkColl
; %bb.0:
	s_waitcnt vmcnt(0) expcnt(0) lgkmcnt(0)
	s_or_saveexec_b64 s[4:5], -1
	buffer_store_dword v63, off, s[0:3], s32 offset:96 ; 4-byte Folded Spill
	s_mov_b64 exec, s[4:5]
	buffer_store_dword v40, off, s[0:3], s32 offset:92 ; 4-byte Folded Spill
	buffer_store_dword v41, off, s[0:3], s32 offset:88 ; 4-byte Folded Spill
	buffer_store_dword v42, off, s[0:3], s32 offset:84 ; 4-byte Folded Spill
	buffer_store_dword v43, off, s[0:3], s32 offset:80 ; 4-byte Folded Spill
	buffer_store_dword v44, off, s[0:3], s32 offset:76 ; 4-byte Folded Spill
	buffer_store_dword v45, off, s[0:3], s32 offset:72 ; 4-byte Folded Spill
	buffer_store_dword v46, off, s[0:3], s32 offset:68 ; 4-byte Folded Spill
	buffer_store_dword v47, off, s[0:3], s32 offset:64 ; 4-byte Folded Spill
	buffer_store_dword v56, off, s[0:3], s32 offset:60 ; 4-byte Folded Spill
	buffer_store_dword v57, off, s[0:3], s32 offset:56 ; 4-byte Folded Spill
	buffer_store_dword v58, off, s[0:3], s32 offset:52 ; 4-byte Folded Spill
	buffer_store_dword v59, off, s[0:3], s32 offset:48 ; 4-byte Folded Spill
	buffer_store_dword v60, off, s[0:3], s32 offset:44 ; 4-byte Folded Spill
	buffer_store_dword v61, off, s[0:3], s32 offset:40 ; 4-byte Folded Spill
	buffer_store_dword v62, off, s[0:3], s32 offset:36 ; 4-byte Folded Spill
	buffer_store_dword a32, off, s[0:3], s32 offset:32 ; 4-byte Folded Spill
	buffer_store_dword a33, off, s[0:3], s32 offset:28 ; 4-byte Folded Spill
	buffer_store_dword a34, off, s[0:3], s32 offset:24 ; 4-byte Folded Spill
	buffer_store_dword a35, off, s[0:3], s32 offset:20 ; 4-byte Folded Spill
	buffer_store_dword a36, off, s[0:3], s32 offset:16 ; 4-byte Folded Spill
	buffer_store_dword a37, off, s[0:3], s32 offset:12 ; 4-byte Folded Spill
	buffer_store_dword a38, off, s[0:3], s32 offset:8 ; 4-byte Folded Spill
	buffer_store_dword a40, off, s[0:3], s32 offset:4 ; 4-byte Folded Spill
	buffer_store_dword a41, off, s[0:3], s32 ; 4-byte Folded Spill
	v_writelane_b32 v63, s34, 0
	v_writelane_b32 v63, s35, 1
	;; [unrolled: 1-line block ×22, first 2 shown]
	s_trap 2
	flat_load_dword v7, v[2:3]
	flat_load_dwordx4 v[56:59], v[2:3] offset:72
	flat_load_dwordx2 v[8:9], v[2:3] offset:88
	ds_read_b32 v4, v0
	ds_read_b64 v[22:23], v0
	v_mov_b32_e32 v24, v0
	v_mov_b32_e32 v20, v1
                                        ; implicit-def: $agpr4_agpr5
	s_waitcnt lgkmcnt(0)
	v_readfirstlane_b32 s20, v4
	s_waitcnt vmcnt(0)
	v_not_b32_sdwa v5, v7 dst_sel:DWORD dst_unused:UNUSED_PAD src0_sel:BYTE_0
	v_add_u32_sdwa v0, v7, v5 dst_sel:DWORD dst_unused:UNUSED_PAD src0_sel:BYTE_1 src1_sel:DWORD
	v_ashrrev_i32_e32 v1, 31, v0
	v_mul_lo_u32 v6, v59, v0
	v_mad_u64_u32 v[10:11], s[4:5], v58, v0, 0
	v_mul_lo_u32 v0, v58, v1
	v_add3_u32 v6, v11, v0, v6
	v_cmp_ne_u32_sdwa s[4:5], v7, v4 src0_sel:BYTE_0 src1_sel:DWORD
                                        ; implicit-def: $vgpr0_vgpr1
	s_and_saveexec_b64 s[6:7], s[4:5]
	s_xor_b64 s[4:5], exec, s[6:7]
	s_cbranch_execz .LBB4_6
; %bb.1:
	v_cmp_ne_u32_sdwa s[6:7], v7, v4 src0_sel:BYTE_1 src1_sel:DWORD
                                        ; implicit-def: $vgpr0_vgpr1
                                        ; implicit-def: $agpr4_agpr5
	s_and_saveexec_b64 s[10:11], s[6:7]
	s_xor_b64 s[6:7], exec, s[10:11]
	s_cbranch_execz .LBB4_3
; %bb.2:
	flat_load_dwordx2 v[0:1], v[2:3] offset:96
	v_add_u32_e32 v4, v4, v5
	v_ashrrev_i32_e32 v5, 31, v4
	v_mul_lo_u32 v5, v58, v5
	v_mul_lo_u32 v7, v59, v4
	v_mad_u64_u32 v[12:13], s[10:11], v58, v4, v[56:57]
	v_add3_u32 v13, v7, v13, v5
	v_accvgpr_write_b32 a4, v12
	v_accvgpr_write_b32 a5, v13
	s_waitcnt vmcnt(0) lgkmcnt(0)
	v_lshrrev_b64 v[0:1], 20, v[0:1]
.LBB4_3:
	s_andn2_saveexec_b64 s[6:7], s[6:7]
	s_cbranch_execz .LBB4_5
; %bb.4:
	flat_load_dword v0, v[2:3] offset:100
	v_add_co_u32_e32 v4, vcc, v10, v56
	v_addc_co_u32_e32 v5, vcc, v6, v57, vcc
	v_accvgpr_write_b32 a4, v4
	v_accvgpr_write_b32 a5, v5
	v_pk_mov_b32 v[58:59], v[8:9], v[8:9] op_sel:[0,1]
	s_waitcnt vmcnt(0) lgkmcnt(0)
	v_lshrrev_b32_e32 v0, 9, v0
.LBB4_5:
	s_or_b64 exec, exec, s[6:7]
.LBB4_6:
	s_andn2_saveexec_b64 s[4:5], s[4:5]
	s_cbranch_execz .LBB4_8
; %bb.7:
	flat_load_dwordx2 v[0:1], v[2:3] offset:96
	v_pk_mov_b32 v[4:5], 0, 0
	v_accvgpr_write_b32 a4, v4
	v_accvgpr_write_b32 a5, v5
	v_pk_mov_b32 v[58:59], v[56:57], v[56:57] op_sel:[0,1]
	s_waitcnt vmcnt(0) lgkmcnt(0)
	v_lshlrev_b64 v[0:1], 1, v[0:1]
.LBB4_8:
	s_or_b64 exec, exec, s[4:5]
	s_load_dword s4, s[8:9], 0x0
	flat_load_dwordx2 v[26:27], v[2:3] offset:104
	flat_load_ushort v5, v[2:3] offset:8
	flat_load_dword v4, v[2:3] offset:4
	flat_load_dwordx4 a[6:9], v[2:3] offset:16
	v_mov_b32_e32 v3, 0
	v_and_b32_e32 v1, 63, v24
	s_waitcnt lgkmcnt(0)
	s_cmp_lt_u32 s12, s4
	s_cselect_b32 s4, 12, 18
	s_add_u32 s4, s8, s4
	s_addc_u32 s5, s9, 0
	global_load_ushort v11, v3, s[4:5]
	s_trap 2
	ds_read_b32 v2, v0
	s_mov_b32 s6, 0
	v_pk_mov_b32 v[18:19], 0, 0
	v_cmp_eq_u32_e64 s[4:5], 0, v1
	s_waitcnt lgkmcnt(0)
	v_cmp_gt_i32_e32 vcc, 0, v2
	s_waitcnt vmcnt(0)
	v_lshrrev_b64 v[4:5], 31, v[4:5]
	v_and_b32_e32 v7, 3, v4
	s_cbranch_vccnz .LBB4_10
; %bb.9:
	s_trap 2
	ds_read_b64 v[4:5], v0
	v_lshlrev_b64 v[12:13], 3, v[2:3]
	v_and_b32_e32 v3, 0xffff, v7
	s_movk_i32 s6, 0xa8
	s_waitcnt lgkmcnt(0)
	v_add_co_u32_e32 v4, vcc, v4, v12
	v_addc_co_u32_e32 v5, vcc, v5, v13, vcc
	flat_load_dwordx2 v[4:5], v[4:5]
	s_waitcnt vmcnt(0) lgkmcnt(0)
	v_mad_u64_u32 v[4:5], s[6:7], v3, s6, v[4:5]
	flat_load_dwordx2 a[14:15], v[4:5] offset:504
	flat_load_dwordx2 v[36:37], v[4:5] offset:608
	v_add_co_u32_e32 v3, vcc, 0x1f8, v4
	v_addc_co_u32_e32 v4, vcc, 0, v5, vcc
	v_cndmask_b32_e64 v29, 0, v4, s[4:5]
	v_cndmask_b32_e64 v28, 0, v3, s[4:5]
	s_mov_b32 s6, 1
	s_branch .LBB4_11
.LBB4_10:
	v_pk_mov_b32 v[28:29], v[18:19], v[18:19] op_sel:[0,1]
                                        ; implicit-def: $vgpr36_vgpr37
                                        ; implicit-def: $agpr14_agpr15
.LBB4_11:
	s_trap 2
	ds_read_b32 v4, v0
	s_waitcnt lgkmcnt(0)
	v_cmp_gt_i32_e32 vcc, 0, v4
	s_cbranch_vccnz .LBB4_13
; %bb.12:
	s_trap 2
	ds_read_b64 v[12:13], v0
	v_mov_b32_e32 v5, 0
	v_lshlrev_b64 v[4:5], 3, v[4:5]
	v_and_b32_e32 v3, 0xffff, v7
	s_movk_i32 s4, 0xa8
	s_waitcnt lgkmcnt(0)
	v_add_co_u32_e32 v4, vcc, v12, v4
	v_addc_co_u32_e32 v5, vcc, v13, v5, vcc
	flat_load_dwordx2 v[4:5], v[4:5]
	v_cmp_eq_u32_e32 vcc, 0, v1
	s_waitcnt vmcnt(0) lgkmcnt(0)
	v_mad_u64_u32 v[4:5], s[4:5], v3, s4, v[4:5]
	flat_load_dwordx2 v[38:39], v[4:5]
	flat_load_dwordx2 v[16:17], v[4:5] offset:104
	v_cndmask_b32_e32 v19, 0, v5, vcc
	v_cndmask_b32_e32 v18, 0, v4, vcc
	s_branch .LBB4_14
.LBB4_13:
                                        ; implicit-def: $vgpr16_vgpr17
                                        ; implicit-def: $vgpr38_vgpr39
.LBB4_14:
	v_subrev_u32_e32 v3, 64, v20
	v_pk_mov_b32 v[12:13], 0, 0
	v_cmp_le_i32_e32 vcc, v3, v24
	v_cmp_gt_u32_e64 s[4:5], s6, v1
	v_accvgpr_write_b32 a17, v13
	s_and_b64 s[22:23], vcc, s[4:5]
	v_accvgpr_write_b32 a16, v12
                                        ; implicit-def: $vgpr48_vgpr49
	s_and_saveexec_b64 s[4:5], s[22:23]
	s_cbranch_execz .LBB4_16
; %bb.15:
	flat_load_dwordx2 a[16:17], v[28:29] offset:56
	flat_load_dwordx2 v[48:49], v[28:29] offset:104
.LBB4_16:
	s_or_b64 exec, exec, s[4:5]
	v_cmp_gt_i32_e64 s[4:5], s6, v24
	v_pk_mov_b32 v[52:53], v[12:13], v[12:13] op_sel:[0,1]
                                        ; implicit-def: $vgpr54_vgpr55
	s_and_saveexec_b64 s[6:7], s[4:5]
	s_cbranch_execz .LBB4_18
; %bb.17:
	flat_load_dwordx2 v[52:53], v[18:19] offset:56
	s_waitcnt vmcnt(0) lgkmcnt(0)
	flat_load_dwordx2 v[54:55], v[52:53] glc
	s_waitcnt vmcnt(0)
	flat_load_dwordx4 v[12:15], v[18:19] offset:96
.LBB4_18:
	s_or_b64 exec, exec, s[6:7]
	v_cmp_ne_u64_e32 vcc, 0, v[58:59]
	v_pk_mov_b32 v[40:41], 0, 0
	s_and_saveexec_b64 s[24:25], vcc
	s_cbranch_execz .LBB4_184
; %bb.19:
	v_ashrrev_i32_e32 v1, 31, v2
	v_lshrrev_b32_e32 v1, 29, v1
	v_add_u32_e32 v1, v2, v1
	v_ashrrev_i32_e32 v62, 7, v1
	v_add_co_u32_e32 v1, vcc, v8, v56
	v_addc_co_u32_e32 v2, vcc, v9, v57, vcc
	v_add_co_u32_e32 v46, vcc, v1, v10
	s_ashr_i32 s21, s20, 31
	v_addc_co_u32_e32 v47, vcc, v2, v6, vcc
	s_lshl_b64 s[6:7], s[20:21], 2
	v_mov_b32_e32 v1, s7
	v_add_co_u32_e32 v2, vcc, s6, v22
	v_addc_co_u32_e32 v1, vcc, v23, v1, vcc
	v_add_co_u32_e32 v2, vcc, -4, v2
	v_addc_co_u32_e32 v3, vcc, -1, v1, vcc
	v_and_b32_e32 v1, 63, v31
	v_ashrrev_i32_e32 v21, 31, v20
	v_cmp_eq_u32_e64 s[12:13], 0, v1
	v_lshrrev_b32_e32 v1, 26, v21
	v_mov_b32_e32 v45, 0
	v_accvgpr_write_b32 a19, v3
	v_add_u32_e32 v1, v20, v1
	v_and_b32_e32 v4, 0x3ffffe, v0
	v_mov_b32_e32 v5, v45
	v_accvgpr_write_b32 a18, v2
	v_ashrrev_i32_e32 v2, 6, v1
	v_pk_mov_b32 v[32:33], v[4:5], v[4:5] op_sel:[0,1]
	v_accvgpr_write_b32 a20, v2
	v_ashrrev_i32_e32 v1, 31, v2
	v_ashrrev_i32_e32 v25, 31, v24
	v_accvgpr_read_b32 v2, a6
	v_lshlrev_b64 v[8:9], 3, v[24:25]
	v_accvgpr_read_b32 v4, a8
	v_accvgpr_write_b32 a21, v1
	v_accvgpr_read_b32 v5, a9
	v_add_co_u32_e32 v1, vcc, v4, v8
	v_accvgpr_write_b32 a24, v1
	v_addc_co_u32_e32 v1, vcc, v5, v9, vcc
	v_accvgpr_read_b32 v3, a7
	v_accvgpr_write_b32 a25, v1
	v_add_co_u32_e32 v1, vcc, v2, v8
	v_accvgpr_write_b32 a26, v1
	v_addc_co_u32_e32 v1, vcc, v3, v9, vcc
	v_and_b32_e32 v44, 7, v2
	v_accvgpr_read_b32 v2, a4
	v_accvgpr_read_b32 v3, a5
	v_cmp_eq_u64_e32 vcc, 0, v[44:45]
	v_lshlrev_b64 v[2:3], 3, v[2:3]
	v_accvgpr_write_b32 a27, v1
	v_cndmask_b32_e64 v30, 0, 1, vcc
	v_add_co_u32_e32 v1, vcc, v2, v8
	v_lshlrev_b32_e32 v0, 3, v0
	v_addc_co_u32_e32 v2, vcc, v3, v9, vcc
	v_and_b32_e32 v0, 0x1fffff0, v0
	v_add_co_u32_e32 v50, vcc, v4, v1
	v_accvgpr_write_b32 a32, v0
	v_lshlrev_b64 v[0:1], 3, v[46:47]
	v_accvgpr_write_b32 a35, v1
	v_addc_co_u32_e32 v51, vcc, v5, v2, vcc
	v_accvgpr_write_b32 a34, v0
	v_lshlrev_b64 v[0:1], 4, v[24:25]
	s_waitcnt vmcnt(0) lgkmcnt(0)
	v_accvgpr_read_b32 v6, a16
	v_add_co_u32_e32 v0, vcc, v38, v0
	v_accvgpr_write_b32 a12, v28
	v_accvgpr_write_b32 a10, v18
	s_cmp_gt_i32 s20, 2
	v_accvgpr_read_b32 v7, a17
	v_accvgpr_write_b32 a23, v9
	v_accvgpr_write_b32 a29, v0
	v_addc_co_u32_e32 v0, vcc, v39, v1, vcc
	v_pk_mov_b32 v[42:43], 0, 0
	v_accvgpr_write_b32 a2, v58
	v_accvgpr_write_b32 a6, v32
	;; [unrolled: 1-line block ×4, first 2 shown]
	s_mov_b64 s[26:27], 0
	v_cmp_ne_u64_e64 s[6:7], 0, v[52:53]
	v_cmp_ne_u64_e64 s[8:9], 0, v[12:13]
	v_cmp_ne_u32_e64 s[10:11], 64, v20
	v_accvgpr_write_b32 a1, v11
	v_cmp_ne_u32_sdwa s[28:29], v11, v20 src0_sel:WORD_0 src1_sel:DWORD
	v_accvgpr_write_b32 a0, v31
	s_cselect_b64 s[30:31], -1, 0
	v_cmp_ne_u64_e64 s[14:15], 0, v[6:7]
	v_accvgpr_write_b32 a22, v8
	v_lshlrev_b64 v[28:29], 3, v[20:21]
	v_accvgpr_write_b32 a33, v0
	s_movk_i32 s21, 0x2710
	s_mov_b64 s[34:35], 0x7ffffff8
	v_mov_b32_e32 v31, 0
	v_lshlrev_b64 v[60:61], 4, v[20:21]
	v_pk_mov_b32 v[40:41], v[42:43], v[42:43] op_sel:[0,1]
	v_accvgpr_write_b32 a3, v59
	v_accvgpr_write_b32 a7, v33
	s_branch .LBB4_21
.LBB4_20:                               ;   in Loop: Header=BB4_21 Depth=1
	s_or_b64 exec, exec, s[16:17]
	v_add_co_u32_e32 v36, vcc, 1, v36
	v_addc_co_u32_e32 v37, vcc, 0, v37, vcc
	v_add_co_u32_e32 v42, vcc, v42, v32
	v_addc_co_u32_e32 v43, vcc, 0, v43, vcc
	v_cmp_ge_u64_e32 vcc, v[42:43], v[58:59]
	v_accvgpr_read_b32 v0, a32
	s_or_b64 s[26:27], vcc, s[26:27]
	v_add_co_u32_e32 v50, vcc, v50, v0
	v_addc_co_u32_e32 v51, vcc, 0, v51, vcc
	s_andn2_b64 exec, exec, s[26:27]
	s_cbranch_execz .LBB4_183
.LBB4_21:                               ; =>This Loop Header: Depth=1
                                        ;     Child Loop BB4_28 Depth 2
                                        ;     Child Loop BB4_45 Depth 2
	;; [unrolled: 1-line block ×5, first 2 shown]
                                        ;       Child Loop BB4_81 Depth 3
                                        ;       Child Loop BB4_97 Depth 3
	;; [unrolled: 1-line block ×3, first 2 shown]
                                        ;         Child Loop BB4_116 Depth 4
                                        ;       Child Loop BB4_130 Depth 3
                                        ;       Child Loop BB4_74 Depth 3
                                        ;     Child Loop BB4_145 Depth 2
                                        ;       Child Loop BB4_149 Depth 3
                                        ;     Child Loop BB4_171 Depth 2
	v_accvgpr_read_b32 v0, a18
	v_accvgpr_read_b32 v1, a19
	s_waitcnt vmcnt(0) lgkmcnt(0)
	flat_load_dword v2, v[0:1]
	v_sub_co_u32_e32 v0, vcc, v58, v42
	v_subb_co_u32_e32 v1, vcc, v59, v43, vcc
	v_cmp_lt_u64_e32 vcc, v[32:33], v[0:1]
	v_cndmask_b32_e32 v0, v0, v32, vcc
	v_accvgpr_write_b32 a38, v0
	s_and_saveexec_b64 s[16:17], s[6:7]
	s_cbranch_execz .LBB4_37
; %bb.22:                               ;   in Loop: Header=BB4_21 Depth=1
	v_add_co_u32_e32 v0, vcc, 1, v14
	v_addc_co_u32_e32 v1, vcc, 0, v15, vcc
	v_add_co_u32_e32 v4, vcc, 8, v54
	v_addc_co_u32_e32 v5, vcc, 0, v55, vcc
	v_cmp_lt_u64_e32 vcc, v[4:5], v[0:1]
	s_and_saveexec_b64 s[18:19], vcc
	s_cbranch_execz .LBB4_34
; %bb.23:                               ;   in Loop: Header=BB4_21 Depth=1
	s_sleep 1
	flat_load_dwordx2 v[54:55], v[52:53] glc
	v_cmp_eq_u32_e32 vcc, 0, v31
	s_and_saveexec_b64 s[36:37], vcc
	s_cbranch_execz .LBB4_33
; %bb.24:                               ;   in Loop: Header=BB4_21 Depth=1
	v_cndmask_b32_e64 v3, 0, 1, vcc
	s_mov_b64 s[38:39], 0
                                        ; implicit-def: $sgpr40_sgpr41
	s_branch .LBB4_28
.LBB4_25:                               ;   in Loop: Header=BB4_28 Depth=2
	s_or_b64 exec, exec, s[48:49]
	s_orn2_b64 s[46:47], s[46:47], exec
.LBB4_26:                               ;   in Loop: Header=BB4_28 Depth=2
	s_or_b64 exec, exec, s[44:45]
	s_xor_b64 vcc, s[46:47], -1
	s_andn2_b64 s[40:41], s[40:41], exec
	s_and_b64 vcc, vcc, exec
	s_or_b64 s[40:41], s[40:41], vcc
.LBB4_27:                               ;   in Loop: Header=BB4_28 Depth=2
	s_or_b64 exec, exec, s[42:43]
	s_and_b64 vcc, exec, s[40:41]
	s_or_b64 s[38:39], vcc, s[38:39]
	s_andn2_b64 exec, exec, s[38:39]
	s_cbranch_execz .LBB4_32
.LBB4_28:                               ;   Parent Loop BB4_21 Depth=1
                                        ; =>  This Inner Loop Header: Depth=2
	s_waitcnt vmcnt(0) lgkmcnt(0)
	v_add_co_u32_e32 v4, vcc, 8, v54
	v_addc_co_u32_e32 v5, vcc, 0, v55, vcc
	v_cmp_lt_u64_e32 vcc, v[4:5], v[0:1]
	v_mov_b32_e32 v31, 0
	s_or_b64 s[40:41], s[40:41], exec
	s_and_saveexec_b64 s[42:43], vcc
	s_cbranch_execz .LBB4_27
; %bb.29:                               ;   in Loop: Header=BB4_28 Depth=2
	s_sleep 1
	flat_load_dwordx2 v[54:55], v[52:53] glc
	v_add_u32_e32 v3, 1, v3
	v_cmp_eq_u32_e32 vcc, s21, v3
	s_mov_b64 s[46:47], -1
	v_mov_b32_e32 v31, 0
	s_and_saveexec_b64 s[44:45], vcc
	s_cbranch_execz .LBB4_26
; %bb.30:                               ;   in Loop: Header=BB4_28 Depth=2
	s_trap 2
	ds_read_b64 v[4:5], v0
	v_mov_b32_e32 v3, 0
	v_mov_b32_e32 v31, 0
	s_waitcnt vmcnt(0) lgkmcnt(0)
	flat_load_dword v4, v[4:5] glc
	s_waitcnt vmcnt(0) lgkmcnt(0)
	buffer_invl2
	buffer_wbinvl1_vol
	v_cmp_ne_u32_e32 vcc, 0, v4
	s_and_saveexec_b64 s[48:49], vcc
	s_cbranch_execz .LBB4_25
; %bb.31:                               ;   in Loop: Header=BB4_28 Depth=2
	v_mov_b32_e32 v31, 1
	s_xor_b64 s[46:47], exec, -1
	ds_write_b32 v0, v4
	s_trap 2
	s_branch .LBB4_25
.LBB4_32:                               ;   in Loop: Header=BB4_21 Depth=1
	s_or_b64 exec, exec, s[38:39]
.LBB4_33:                               ;   in Loop: Header=BB4_21 Depth=1
	s_or_b64 exec, exec, s[36:37]
.LBB4_34:                               ;   in Loop: Header=BB4_21 Depth=1
	s_or_b64 exec, exec, s[18:19]
	s_and_saveexec_b64 s[18:19], s[8:9]
	s_cbranch_execz .LBB4_36
; %bb.35:                               ;   in Loop: Header=BB4_21 Depth=1
	v_and_b32_e32 v44, 0x7ffffff8, v14
	v_cmp_eq_u64_e32 vcc, s[34:35], v[44:45]
	v_accvgpr_read_b32 v3, a38
	v_cndmask_b32_e32 v3, v3, v62, vcc
	v_lshlrev_b32_e32 v4, 4, v3
	v_and_b32_e32 v3, 7, v14
	v_ashrrev_i32_e32 v5, 31, v4
	v_mad_u64_u32 v[6:7], vcc, v3, 24, v[12:13]
	flat_store_dwordx2 v[6:7], v[4:5] offset:8
	s_waitcnt vmcnt(0)
.LBB4_36:                               ;   in Loop: Header=BB4_21 Depth=1
	s_or_b64 exec, exec, s[18:19]
	v_pk_mov_b32 v[14:15], v[0:1], v[0:1] op_sel:[0,1]
.LBB4_37:                               ;   in Loop: Header=BB4_21 Depth=1
	s_or_b64 exec, exec, s[16:17]
	s_and_saveexec_b64 s[16:17], s[10:11]
	s_cbranch_execz .LBB4_56
; %bb.38:                               ;   in Loop: Header=BB4_21 Depth=1
	s_and_saveexec_b64 s[18:19], s[28:29]
	s_xor_b64 s[18:19], exec, s[18:19]
	s_cbranch_execz .LBB4_53
; %bb.39:                               ;   in Loop: Header=BB4_21 Depth=1
	s_and_saveexec_b64 s[36:37], s[12:13]
	s_cbranch_execz .LBB4_52
; %bb.40:                               ;   in Loop: Header=BB4_21 Depth=1
	s_mov_b64 s[40:41], exec
	v_mbcnt_lo_u32_b32 v0, s40, 0
	v_mbcnt_hi_u32_b32 v0, s41, v0
	v_cmp_eq_u32_e32 vcc, 0, v0
	s_waitcnt vmcnt(0) lgkmcnt(0)
	buffer_wbinvl1_vol
	s_and_saveexec_b64 s[38:39], vcc
	s_cbranch_execz .LBB4_42
; %bb.41:                               ;   in Loop: Header=BB4_21 Depth=1
	s_bcnt1_i32_b64 vcc_lo, s[40:41]
	v_mov_b32_e32 v44, vcc_lo
	ds_add_u64 v0, v[44:45]
	s_trap 2
.LBB4_42:                               ;   in Loop: Header=BB4_21 Depth=1
	s_or_b64 exec, exec, s[38:39]
	s_trap 2
	ds_read_b64 v[0:1], v0
	v_accvgpr_read_b32 v4, a20
	v_add_co_u32_e32 v40, vcc, v40, v4
	v_accvgpr_read_b32 v3, a21
	v_addc_co_u32_e32 v41, vcc, v41, v3, vcc
	s_waitcnt lgkmcnt(0)
	v_cmp_lt_u64_e32 vcc, v[0:1], v[40:41]
	s_and_saveexec_b64 s[38:39], vcc
	s_cbranch_execz .LBB4_51
; %bb.43:                               ;   in Loop: Header=BB4_21 Depth=1
	s_mov_b32 s50, 0
	s_mov_b64 s[40:41], 0
                                        ; implicit-def: $sgpr42_sgpr43
                                        ; implicit-def: $sgpr44_sgpr45
	s_branch .LBB4_45
.LBB4_44:                               ;   in Loop: Header=BB4_45 Depth=2
	s_or_b64 exec, exec, s[48:49]
	s_and_b64 vcc, exec, vcc
	s_or_b64 s[40:41], vcc, s[40:41]
	s_andn2_b64 vcc, s[42:43], exec
	s_and_b64 s[42:43], s[44:45], exec
	s_or_b64 s[42:43], vcc, s[42:43]
	s_andn2_b64 exec, exec, s[40:41]
	s_cbranch_execz .LBB4_49
.LBB4_45:                               ;   Parent Loop BB4_21 Depth=1
                                        ; =>  This Inner Loop Header: Depth=2
	s_add_i32 s50, s50, 1
	s_cmpk_lg_i32 s50, 0x2710
	s_cselect_b64 s[46:47], -1, 0
	s_and_b64 vcc, exec, s[46:47]
                                        ; implicit-def: $sgpr48_sgpr49
	s_cbranch_vccnz .LBB4_47
; %bb.46:                               ;   in Loop: Header=BB4_45 Depth=2
	s_trap 2
	ds_read_b64 v[0:1], v0
	s_andn2_b64 s[46:47], s[46:47], exec
	s_mov_b32 s50, 0
	s_mov_b64 s[48:49], -1
	s_waitcnt lgkmcnt(0)
	flat_load_dword v0, v[0:1] glc
	s_waitcnt vmcnt(0) lgkmcnt(0)
	buffer_invl2
	buffer_wbinvl1_vol
	v_cmp_eq_u32_e32 vcc, 0, v0
	s_and_b64 vcc, vcc, exec
	s_or_b64 s[46:47], s[46:47], vcc
.LBB4_47:                               ;   in Loop: Header=BB4_45 Depth=2
	s_andn2_b64 s[44:45], s[44:45], exec
	s_and_b64 s[48:49], s[48:49], exec
	s_mov_b64 vcc, -1
	s_or_b64 s[44:45], s[44:45], s[48:49]
	s_and_saveexec_b64 s[48:49], s[46:47]
	s_cbranch_execz .LBB4_44
; %bb.48:                               ;   in Loop: Header=BB4_45 Depth=2
	s_sleep 1
	s_trap 2
	ds_read_b64 v[0:1], v0
	s_andn2_b64 s[44:45], s[44:45], exec
	s_waitcnt lgkmcnt(0)
	v_cmp_ge_u64_e32 vcc, v[0:1], v[40:41]
	s_orn2_b64 vcc, vcc, exec
	s_branch .LBB4_44
.LBB4_49:                               ;   in Loop: Header=BB4_21 Depth=1
	s_or_b64 exec, exec, s[40:41]
	s_and_saveexec_b64 vcc, s[42:43]
	s_xor_b64 vcc, exec, vcc
	s_cbranch_execz .LBB4_51
; %bb.50:                               ;   in Loop: Header=BB4_21 Depth=1
	v_mov_b32_e32 v0, 1
	ds_write_b32 v0, v0
	s_trap 2
.LBB4_51:                               ;   in Loop: Header=BB4_21 Depth=1
	s_or_b64 exec, exec, s[38:39]
	;;#ASMSTART
	s_wakeup
	;;#ASMEND
.LBB4_52:                               ;   in Loop: Header=BB4_21 Depth=1
	s_or_b64 exec, exec, s[36:37]
.LBB4_53:                               ;   in Loop: Header=BB4_21 Depth=1
	s_andn2_saveexec_b64 s[18:19], s[18:19]
	s_cbranch_execz .LBB4_55
; %bb.54:                               ;   in Loop: Header=BB4_21 Depth=1
	s_waitcnt vmcnt(0) lgkmcnt(0)
	buffer_wbinvl1_vol
	s_barrier
.LBB4_55:                               ;   in Loop: Header=BB4_21 Depth=1
	s_or_b64 exec, exec, s[18:19]
.LBB4_56:                               ;   in Loop: Header=BB4_21 Depth=1
	s_or_b64 exec, exec, s[16:17]
	v_accvgpr_read_b32 v0, a38
	v_sub_u32_e32 v34, v0, v24
	v_cmp_lt_i32_e64 s[16:17], 0, v34
	v_and_b32_e32 v1, 7, v16
	v_mov_b32_e32 v0, v24
	s_and_saveexec_b64 s[18:19], s[16:17]
	s_cbranch_execz .LBB4_60
; %bb.57:                               ;   in Loop: Header=BB4_21 Depth=1
	v_accvgpr_read_b32 v10, a34
	s_waitcnt vmcnt(0) lgkmcnt(0)
	v_ashrrev_i32_e32 v0, 31, v2
	v_mul_lo_u32 v4, v1, v62
	v_mov_b32_e32 v3, v16
	v_add_co_u32_e64 v8, vcc, 0, 0
	v_accvgpr_read_b32 v11, a35
	v_ashrrev_i32_e32 v5, 31, v4
	v_addc_co_u32_e32 v3, vcc, 1, v3, vcc
	v_mad_u64_u32 v[6:7], vcc, v10, v2, v[50:51]
	v_mul_lo_u32 v2, v11, v2
	v_mul_lo_u32 v0, v10, v0
	v_add3_u32 v7, v2, v7, v0
	v_lshlrev_b64 v[4:5], 4, v[4:5]
	v_accvgpr_read_b32 v0, a29
	v_add_co_u32_e32 v10, vcc, v0, v4
	v_accvgpr_read_b32 v0, a33
	v_addc_co_u32_e32 v11, vcc, v0, v5, vcc
	s_mov_b64 s[36:37], 0
	v_mov_b32_e32 v9, v34
	v_mov_b32_e32 v0, v24
.LBB4_58:                               ;   Parent Loop BB4_21 Depth=1
                                        ; =>  This Inner Loop Header: Depth=2
	global_load_dwordx2 v[18:19], v[6:7], off glc slc
	v_add_co_u32_e32 v6, vcc, v6, v28
	v_sub_u32_e32 v9, v9, v20
	v_addc_co_u32_e32 v7, vcc, v7, v29, vcc
	v_cmp_gt_i32_e32 vcc, 1, v9
	s_or_b64 s[36:37], vcc, s[36:37]
	v_mov_b32_e32 v5, v3
	v_add_u32_e32 v0, v0, v20
	s_waitcnt vmcnt(0)
	v_mul_lo_u32 v2, v19, v26
	v_mul_lo_u32 v4, v18, v27
	v_mad_u64_u32 v[18:19], vcc, v18, v26, 0
	v_add3_u32 v4, v19, v4, v2
	v_or_b32_e32 v2, v8, v18
	v_or_b32_e32 v4, v8, v4
	global_store_dwordx4 v[10:11], v[2:5], off
	v_add_co_u32_e32 v10, vcc, v10, v60
	v_addc_co_u32_e32 v11, vcc, v11, v61, vcc
	s_andn2_b64 exec, exec, s[36:37]
	s_cbranch_execnz .LBB4_58
; %bb.59:                               ;   in Loop: Header=BB4_21 Depth=1
	s_or_b64 exec, exec, s[36:37]
.LBB4_60:                               ;   in Loop: Header=BB4_21 Depth=1
	s_or_b64 exec, exec, s[18:19]
	v_and_b32_e32 v44, 0x7ffffff8, v16
	v_cmp_eq_u64_e32 vcc, s[34:35], v[44:45]
	v_cmp_gt_i32_e64 s[18:19], v62, v0
	s_and_b64 s[18:19], vcc, s[18:19]
	s_and_saveexec_b64 s[36:37], s[18:19]
	s_cbranch_execz .LBB4_63
; %bb.61:                               ;   in Loop: Header=BB4_21 Depth=1
	v_mul_lo_u32 v4, v1, v62
	v_mov_b32_e32 v1, v16
	s_waitcnt vmcnt(0) lgkmcnt(0)
	v_add_co_u32_e64 v2, vcc, 0, 0
	v_ashrrev_i32_e32 v5, 31, v4
	v_addc_co_u32_e32 v3, vcc, 1, v1, vcc
	v_ashrrev_i32_e32 v1, 31, v0
	v_lshlrev_b64 v[6:7], 4, v[0:1]
	v_lshlrev_b64 v[4:5], 4, v[4:5]
	v_add_co_u32_e32 v1, vcc, v6, v4
	v_addc_co_u32_e32 v4, vcc, v7, v5, vcc
	v_add_co_u32_e32 v6, vcc, v38, v1
	v_addc_co_u32_e32 v7, vcc, v39, v4, vcc
	s_mov_b64 s[38:39], 0
.LBB4_62:                               ;   Parent Loop BB4_21 Depth=1
                                        ; =>  This Inner Loop Header: Depth=2
	v_mov_b32_e32 v4, v2
	v_mov_b32_e32 v5, v3
	v_add_u32_e32 v0, v0, v20
	global_store_dwordx4 v[6:7], v[2:5], off
	v_cmp_ge_i32_e32 vcc, v0, v62
	v_add_co_u32_e64 v6, s[18:19], v6, v60
	s_or_b64 s[38:39], vcc, s[38:39]
	v_addc_co_u32_e64 v7, vcc, v7, v61, s[18:19]
	s_andn2_b64 exec, exec, s[38:39]
	s_cbranch_execnz .LBB4_62
.LBB4_63:                               ;   in Loop: Header=BB4_21 Depth=1
	s_or_b64 exec, exec, s[36:37]
	v_accvgpr_read_b32 v0, a4
	v_accvgpr_read_b32 v1, a5
	v_add_co_u32_e32 v0, vcc, v42, v0
	v_addc_co_u32_e32 v1, vcc, v43, v1, vcc
	v_add_co_u32_e32 v10, vcc, 1, v16
	v_addc_co_u32_e32 v11, vcc, 0, v17, vcc
	s_andn2_b64 vcc, exec, s[30:31]
	v_lshlrev_b64 v[8:9], 3, v[0:1]
	s_cbranch_vccnz .LBB4_141
; %bb.64:                               ;   in Loop: Header=BB4_21 Depth=1
	v_accvgpr_read_b32 v0, a24
	v_accvgpr_write_b32 a36, v42
	v_accvgpr_write_b32 a30, v50
	v_add_co_u32_e32 v56, vcc, v0, v8
	v_accvgpr_read_b32 v0, a25
	v_accvgpr_write_b32 a41, v9
	v_accvgpr_write_b32 a37, v43
	;; [unrolled: 1-line block ×5, first 2 shown]
	v_addc_co_u32_e32 v57, vcc, v0, v9, vcc
	v_add_u16_e32 v21, 1, v16
	s_mov_b32 s52, 2
	s_branch .LBB4_66
.LBB4_65:                               ;   in Loop: Header=BB4_66 Depth=2
	s_or_b64 exec, exec, s[36:37]
	v_add_co_u32_e32 v36, vcc, 1, v36
	v_addc_co_u32_e32 v37, vcc, 0, v37, vcc
	s_add_i32 s52, s52, 1
	v_add_co_u32_e32 v10, vcc, 1, v10
	v_addc_co_u32_e32 v11, vcc, 0, v11, vcc
	s_cmp_eq_u32 s52, s20
	v_add_u16_e32 v21, 1, v21
	s_cbranch_scc1 .LBB4_142
.LBB4_66:                               ;   Parent Loop BB4_21 Depth=1
                                        ; =>  This Loop Header: Depth=2
                                        ;       Child Loop BB4_81 Depth 3
                                        ;       Child Loop BB4_97 Depth 3
	;; [unrolled: 1-line block ×3, first 2 shown]
                                        ;         Child Loop BB4_116 Depth 4
                                        ;       Child Loop BB4_130 Depth 3
                                        ;       Child Loop BB4_74 Depth 3
	s_sub_i32 s18, s20, s52
	s_ashr_i32 s19, s18, 31
	s_lshl_b64 s[18:19], s[18:19], 2
	v_mov_b32_e32 v1, s19
	v_add_co_u32_e32 v0, vcc, s18, v22
	v_addc_co_u32_e32 v1, vcc, v23, v1, vcc
	s_waitcnt vmcnt(0) lgkmcnt(0)
	flat_load_dword v2, v[0:1]
	s_and_saveexec_b64 s[18:19], s[6:7]
	s_cbranch_execnz .LBB4_75
; %bb.67:                               ;   in Loop: Header=BB4_66 Depth=2
	s_or_b64 exec, exec, s[18:19]
	s_and_saveexec_b64 s[18:19], s[10:11]
	s_cbranch_execnz .LBB4_90
.LBB4_68:                               ;   in Loop: Header=BB4_66 Depth=2
	s_or_b64 exec, exec, s[18:19]
	v_mov_b32_e32 v0, v24
	s_and_saveexec_b64 s[36:37], s[16:17]
	s_cbranch_execnz .LBB4_108
.LBB4_69:                               ;   in Loop: Header=BB4_66 Depth=2
	s_or_b64 exec, exec, s[36:37]
	s_and_saveexec_b64 s[18:19], s[10:11]
	s_cbranch_execnz .LBB4_123
.LBB4_70:                               ;   in Loop: Header=BB4_66 Depth=2
	s_or_b64 exec, exec, s[18:19]
	s_and_saveexec_b64 s[18:19], s[14:15]
	s_cbranch_execz .LBB4_72
.LBB4_71:                               ;   in Loop: Header=BB4_66 Depth=2
	v_add_co_u32_e32 v48, vcc, 1, v48
	s_waitcnt vmcnt(0) lgkmcnt(0)
	v_accvgpr_read_b32 v2, a16
	v_addc_co_u32_e32 v49, vcc, 0, v49, vcc
	v_accvgpr_read_b32 v3, a17
	flat_store_dwordx2 v[2:3], v[48:49]
.LBB4_72:                               ;   in Loop: Header=BB4_66 Depth=2
	s_or_b64 exec, exec, s[18:19]
	v_and_b32_e32 v44, 0x7ffffff8, v10
	v_cmp_eq_u64_e32 vcc, s[34:35], v[44:45]
	v_cmp_gt_i32_e64 s[18:19], v62, v0
	s_and_b64 s[18:19], vcc, s[18:19]
	s_and_saveexec_b64 s[36:37], s[18:19]
	s_cbranch_execz .LBB4_65
; %bb.73:                               ;   in Loop: Header=BB4_66 Depth=2
	v_and_b32_e32 v1, 7, v21
	s_waitcnt vmcnt(0) lgkmcnt(0)
	v_mul_lo_u32 v2, v62, v1
	v_ashrrev_i32_e32 v3, 31, v2
	v_lshlrev_b64 v[4:5], 4, v[2:3]
	v_mov_b32_e32 v1, v10
	v_add_co_u32_e64 v2, vcc, 0, 0
	v_addc_co_u32_e32 v3, vcc, 1, v1, vcc
	v_ashrrev_i32_e32 v1, 31, v0
	v_lshlrev_b64 v[6:7], 4, v[0:1]
	v_add_co_u32_e32 v1, vcc, v6, v4
	v_addc_co_u32_e32 v4, vcc, v7, v5, vcc
	v_add_co_u32_e32 v6, vcc, v38, v1
	v_addc_co_u32_e32 v7, vcc, v39, v4, vcc
	s_mov_b64 s[38:39], 0
.LBB4_74:                               ;   Parent Loop BB4_21 Depth=1
                                        ;     Parent Loop BB4_66 Depth=2
                                        ; =>    This Inner Loop Header: Depth=3
	v_mov_b32_e32 v4, v2
	v_mov_b32_e32 v5, v3
	v_add_u32_e32 v0, v0, v20
	global_store_dwordx4 v[6:7], v[2:5], off
	v_cmp_ge_i32_e32 vcc, v0, v62
	v_add_co_u32_e64 v6, s[18:19], v6, v60
	s_or_b64 s[38:39], vcc, s[38:39]
	v_addc_co_u32_e64 v7, vcc, v7, v61, s[18:19]
	s_andn2_b64 exec, exec, s[38:39]
	s_cbranch_execnz .LBB4_74
	s_branch .LBB4_65
.LBB4_75:                               ;   in Loop: Header=BB4_66 Depth=2
	v_add_co_u32_e32 v0, vcc, 1, v14
	v_addc_co_u32_e32 v1, vcc, 0, v15, vcc
	v_add_co_u32_e32 v4, vcc, 8, v54
	v_addc_co_u32_e32 v5, vcc, 0, v55, vcc
	v_cmp_lt_u64_e32 vcc, v[4:5], v[0:1]
	s_and_saveexec_b64 s[36:37], vcc
	s_cbranch_execz .LBB4_87
; %bb.76:                               ;   in Loop: Header=BB4_66 Depth=2
	s_sleep 1
	flat_load_dwordx2 v[54:55], v[52:53] glc
	v_cmp_eq_u32_e32 vcc, 0, v31
	s_and_saveexec_b64 s[38:39], vcc
	s_cbranch_execz .LBB4_86
; %bb.77:                               ;   in Loop: Header=BB4_66 Depth=2
	v_cndmask_b32_e64 v3, 0, 1, vcc
	s_mov_b64 s[40:41], 0
                                        ; implicit-def: $sgpr42_sgpr43
	s_branch .LBB4_81
.LBB4_78:                               ;   in Loop: Header=BB4_81 Depth=3
	s_or_b64 exec, exec, s[50:51]
	s_orn2_b64 s[48:49], s[48:49], exec
.LBB4_79:                               ;   in Loop: Header=BB4_81 Depth=3
	s_or_b64 exec, exec, s[46:47]
	s_xor_b64 vcc, s[48:49], -1
	s_andn2_b64 s[42:43], s[42:43], exec
	s_and_b64 vcc, vcc, exec
	s_or_b64 s[42:43], s[42:43], vcc
.LBB4_80:                               ;   in Loop: Header=BB4_81 Depth=3
	s_or_b64 exec, exec, s[44:45]
	s_and_b64 vcc, exec, s[42:43]
	s_or_b64 s[40:41], vcc, s[40:41]
	s_andn2_b64 exec, exec, s[40:41]
	s_cbranch_execz .LBB4_85
.LBB4_81:                               ;   Parent Loop BB4_21 Depth=1
                                        ;     Parent Loop BB4_66 Depth=2
                                        ; =>    This Inner Loop Header: Depth=3
	s_waitcnt vmcnt(0) lgkmcnt(0)
	v_add_co_u32_e32 v4, vcc, 8, v54
	v_addc_co_u32_e32 v5, vcc, 0, v55, vcc
	v_cmp_lt_u64_e32 vcc, v[4:5], v[0:1]
	v_mov_b32_e32 v31, 0
	s_or_b64 s[42:43], s[42:43], exec
	s_and_saveexec_b64 s[44:45], vcc
	s_cbranch_execz .LBB4_80
; %bb.82:                               ;   in Loop: Header=BB4_81 Depth=3
	s_sleep 1
	flat_load_dwordx2 v[54:55], v[52:53] glc
	v_add_u32_e32 v3, 1, v3
	v_cmp_eq_u32_e32 vcc, s21, v3
	s_mov_b64 s[48:49], -1
	v_mov_b32_e32 v31, 0
	s_and_saveexec_b64 s[46:47], vcc
	s_cbranch_execz .LBB4_79
; %bb.83:                               ;   in Loop: Header=BB4_81 Depth=3
	s_trap 2
	ds_read_b64 v[4:5], v0
	v_mov_b32_e32 v3, 0
	v_mov_b32_e32 v31, 0
	s_waitcnt vmcnt(0) lgkmcnt(0)
	flat_load_dword v4, v[4:5] glc
	s_waitcnt vmcnt(0) lgkmcnt(0)
	buffer_invl2
	buffer_wbinvl1_vol
	v_cmp_ne_u32_e32 vcc, 0, v4
	s_and_saveexec_b64 s[50:51], vcc
	s_cbranch_execz .LBB4_78
; %bb.84:                               ;   in Loop: Header=BB4_81 Depth=3
	v_mov_b32_e32 v31, 1
	s_xor_b64 s[48:49], exec, -1
	ds_write_b32 v0, v4
	s_trap 2
	s_branch .LBB4_78
.LBB4_85:                               ;   in Loop: Header=BB4_66 Depth=2
	s_or_b64 exec, exec, s[40:41]
.LBB4_86:                               ;   in Loop: Header=BB4_66 Depth=2
	s_or_b64 exec, exec, s[38:39]
.LBB4_87:                               ;   in Loop: Header=BB4_66 Depth=2
	s_or_b64 exec, exec, s[36:37]
	s_and_saveexec_b64 s[36:37], s[8:9]
	s_cbranch_execz .LBB4_89
; %bb.88:                               ;   in Loop: Header=BB4_66 Depth=2
	v_and_b32_e32 v44, 0x7ffffff8, v14
	v_cmp_eq_u64_e32 vcc, s[34:35], v[44:45]
	v_accvgpr_read_b32 v3, a38
	v_cndmask_b32_e32 v3, v3, v62, vcc
	v_lshlrev_b32_e32 v4, 4, v3
	v_and_b32_e32 v3, 7, v14
	v_ashrrev_i32_e32 v5, 31, v4
	v_mad_u64_u32 v[6:7], vcc, v3, 24, v[12:13]
	flat_store_dwordx2 v[6:7], v[4:5] offset:8
	s_waitcnt vmcnt(0)
.LBB4_89:                               ;   in Loop: Header=BB4_66 Depth=2
	s_or_b64 exec, exec, s[36:37]
	v_pk_mov_b32 v[14:15], v[0:1], v[0:1] op_sel:[0,1]
	s_or_b64 exec, exec, s[18:19]
	s_and_saveexec_b64 s[18:19], s[10:11]
	s_cbranch_execz .LBB4_68
.LBB4_90:                               ;   in Loop: Header=BB4_66 Depth=2
	s_and_saveexec_b64 vcc, s[28:29]
	s_xor_b64 s[36:37], exec, vcc
	s_cbranch_execz .LBB4_105
; %bb.91:                               ;   in Loop: Header=BB4_66 Depth=2
	s_and_saveexec_b64 s[38:39], s[12:13]
	s_cbranch_execz .LBB4_104
; %bb.92:                               ;   in Loop: Header=BB4_66 Depth=2
	s_mov_b64 s[42:43], exec
	v_mbcnt_lo_u32_b32 v0, s42, 0
	v_mbcnt_hi_u32_b32 v0, s43, v0
	v_cmp_eq_u32_e32 vcc, 0, v0
	s_waitcnt vmcnt(0) lgkmcnt(0)
	buffer_wbinvl1_vol
	s_and_saveexec_b64 s[40:41], vcc
	s_cbranch_execz .LBB4_94
; %bb.93:                               ;   in Loop: Header=BB4_66 Depth=2
	s_bcnt1_i32_b64 vcc_lo, s[42:43]
	v_mov_b32_e32 v44, vcc_lo
	ds_add_u64 v0, v[44:45]
	s_trap 2
.LBB4_94:                               ;   in Loop: Header=BB4_66 Depth=2
	s_or_b64 exec, exec, s[40:41]
	s_trap 2
	ds_read_b64 v[0:1], v0
	v_accvgpr_read_b32 v4, a20
	v_add_co_u32_e32 v40, vcc, v40, v4
	v_accvgpr_read_b32 v3, a21
	v_addc_co_u32_e32 v41, vcc, v41, v3, vcc
	s_waitcnt lgkmcnt(0)
	v_cmp_lt_u64_e32 vcc, v[0:1], v[40:41]
	s_and_saveexec_b64 s[40:41], vcc
	s_cbranch_execz .LBB4_103
; %bb.95:                               ;   in Loop: Header=BB4_66 Depth=2
	s_mov_b32 s53, 0
	s_mov_b64 s[42:43], 0
                                        ; implicit-def: $sgpr44_sgpr45
                                        ; implicit-def: $sgpr46_sgpr47
	s_branch .LBB4_97
.LBB4_96:                               ;   in Loop: Header=BB4_97 Depth=3
	s_or_b64 exec, exec, s[50:51]
	s_and_b64 vcc, exec, vcc
	s_or_b64 s[42:43], vcc, s[42:43]
	s_andn2_b64 vcc, s[44:45], exec
	s_and_b64 s[44:45], s[46:47], exec
	s_or_b64 s[44:45], vcc, s[44:45]
	s_andn2_b64 exec, exec, s[42:43]
	s_cbranch_execz .LBB4_101
.LBB4_97:                               ;   Parent Loop BB4_21 Depth=1
                                        ;     Parent Loop BB4_66 Depth=2
                                        ; =>    This Inner Loop Header: Depth=3
	s_add_i32 s53, s53, 1
	s_cmpk_lg_i32 s53, 0x2710
	s_cselect_b64 s[48:49], -1, 0
	s_and_b64 vcc, exec, s[48:49]
                                        ; implicit-def: $sgpr50_sgpr51
	s_cbranch_vccnz .LBB4_99
; %bb.98:                               ;   in Loop: Header=BB4_97 Depth=3
	s_trap 2
	ds_read_b64 v[0:1], v0
	s_andn2_b64 s[48:49], s[48:49], exec
	s_mov_b32 s53, 0
	s_mov_b64 s[50:51], -1
	s_waitcnt lgkmcnt(0)
	flat_load_dword v0, v[0:1] glc
	s_waitcnt vmcnt(0) lgkmcnt(0)
	buffer_invl2
	buffer_wbinvl1_vol
	v_cmp_eq_u32_e32 vcc, 0, v0
	s_and_b64 vcc, vcc, exec
	s_or_b64 s[48:49], s[48:49], vcc
.LBB4_99:                               ;   in Loop: Header=BB4_97 Depth=3
	s_andn2_b64 s[46:47], s[46:47], exec
	s_and_b64 s[50:51], s[50:51], exec
	s_mov_b64 vcc, -1
	s_or_b64 s[46:47], s[46:47], s[50:51]
	s_and_saveexec_b64 s[50:51], s[48:49]
	s_cbranch_execz .LBB4_96
; %bb.100:                              ;   in Loop: Header=BB4_97 Depth=3
	s_sleep 1
	s_trap 2
	ds_read_b64 v[0:1], v0
	s_andn2_b64 s[46:47], s[46:47], exec
	s_waitcnt lgkmcnt(0)
	v_cmp_ge_u64_e32 vcc, v[0:1], v[40:41]
	s_orn2_b64 vcc, vcc, exec
	s_branch .LBB4_96
.LBB4_101:                              ;   in Loop: Header=BB4_66 Depth=2
	s_or_b64 exec, exec, s[42:43]
	s_and_saveexec_b64 vcc, s[44:45]
	s_xor_b64 vcc, exec, vcc
	s_cbranch_execz .LBB4_103
; %bb.102:                              ;   in Loop: Header=BB4_66 Depth=2
	v_mov_b32_e32 v0, 1
	ds_write_b32 v0, v0
	s_trap 2
.LBB4_103:                              ;   in Loop: Header=BB4_66 Depth=2
	s_or_b64 exec, exec, s[40:41]
	;;#ASMSTART
	s_wakeup
	;;#ASMEND
.LBB4_104:                              ;   in Loop: Header=BB4_66 Depth=2
	s_or_b64 exec, exec, s[38:39]
.LBB4_105:                              ;   in Loop: Header=BB4_66 Depth=2
	s_andn2_saveexec_b64 vcc, s[36:37]
	s_cbranch_execz .LBB4_107
; %bb.106:                              ;   in Loop: Header=BB4_66 Depth=2
	s_waitcnt vmcnt(0) lgkmcnt(0)
	buffer_wbinvl1_vol
	s_barrier
.LBB4_107:                              ;   in Loop: Header=BB4_66 Depth=2
	s_or_b64 exec, exec, vcc
	s_or_b64 exec, exec, s[18:19]
	v_mov_b32_e32 v0, v24
	s_and_saveexec_b64 s[36:37], s[16:17]
	s_cbranch_execz .LBB4_69
.LBB4_108:                              ;   in Loop: Header=BB4_66 Depth=2
	s_waitcnt vmcnt(0) lgkmcnt(0)
	v_ashrrev_i32_e32 v0, 31, v2
	v_mul_lo_u32 v3, v47, v2
	v_mul_lo_u32 v4, v46, v0
	v_mad_u64_u32 v[0:1], s[18:19], v46, v2, 0
	v_add3_u32 v1, v1, v4, v3
	v_lshlrev_b64 v[0:1], 3, v[0:1]
	v_add_co_u32_e32 v58, vcc, v56, v0
	v_and_b32_e32 v0, 7, v36
	v_mul_lo_u32 v0, v0, v62
	v_addc_co_u32_e32 v59, vcc, v57, v1, vcc
	v_ashrrev_i32_e32 v1, 31, v0
	v_lshlrev_b64 v[0:1], 4, v[0:1]
	v_accvgpr_read_b32 v2, a14
	v_add_co_u32_e32 v44, vcc, v2, v0
	v_and_b32_e32 v0, 7, v10
	v_accvgpr_read_b32 v3, a15
	v_mul_lo_u32 v0, v0, v62
	v_addc_co_u32_e32 v30, vcc, v3, v1, vcc
	v_ashrrev_i32_e32 v1, 31, v0
	v_lshlrev_b64 v[0:1], 4, v[0:1]
	v_add_co_u32_e32 v51, vcc, v38, v0
	v_addc_co_u32_e32 v8, vcc, v39, v1, vcc
	v_mov_b32_e32 v1, v10
	v_add_co_u32_e64 v9, vcc, 0, 0
	v_add_u32_e32 v50, 1, v36
	v_addc_co_u32_e32 v3, vcc, 1, v1, vcc
	s_mov_b64 s[38:39], 0
	v_mov_b32_e32 v35, v31
	v_mov_b32_e32 v25, v34
	;; [unrolled: 1-line block ×3, first 2 shown]
	s_branch .LBB4_112
.LBB4_109:                              ;   in Loop: Header=BB4_112 Depth=3
	s_or_b64 exec, exec, s[44:45]
.LBB4_110:                              ;   in Loop: Header=BB4_112 Depth=3
	s_or_b64 exec, exec, s[42:43]
.LBB4_111:                              ;   in Loop: Header=BB4_112 Depth=3
	s_or_b64 exec, exec, s[40:41]
	v_add_co_u32_e32 v58, vcc, v58, v28
	s_waitcnt vmcnt(0)
	v_mov_b32_e32 v17, v45
	v_addc_co_u32_e32 v59, vcc, v59, v29, vcc
	v_mad_u64_u32 v[16:17], s[18:19], v4, v26, v[16:17]
	v_mov_b32_e32 v2, v17
	v_add_co_u32_e32 v6, vcc, v51, v6
	v_mul_lo_u32 v1, v4, v27
	v_mad_u64_u32 v[4:5], s[18:19], v5, v26, v[2:3]
	v_addc_co_u32_e32 v7, vcc, v8, v7, vcc
	v_sub_u32_e32 v25, v25, v20
	v_add3_u32 v1, v1, v4, v18
	v_cmp_gt_i32_e32 vcc, 1, v25
	v_or_b32_e32 v2, v16, v9
	v_or_b32_e32 v4, v9, v1
	v_mov_b32_e32 v5, v3
	s_or_b64 s[38:39], vcc, s[38:39]
	v_add_u32_e32 v0, v0, v20
	global_store_dwordx4 v[6:7], v[2:5], off
	s_andn2_b64 exec, exec, s[38:39]
	s_cbranch_execz .LBB4_122
.LBB4_112:                              ;   Parent Loop BB4_21 Depth=1
                                        ;     Parent Loop BB4_66 Depth=2
                                        ; =>    This Loop Header: Depth=3
                                        ;         Child Loop BB4_116 Depth 4
	v_ashrrev_i32_e32 v1, 31, v0
	v_lshlrev_b64 v[6:7], 4, v[0:1]
	v_add_co_u32_e32 v42, vcc, v44, v6
	v_addc_co_u32_e32 v43, vcc, v30, v7, vcc
	global_load_dwordx2 v[4:5], v[58:59], off glc slc
	global_load_dwordx4 v[16:19], v[42:43], off glc slc
	v_cmp_eq_u32_e32 vcc, 0, v35
	s_and_saveexec_b64 s[40:41], vcc
	s_cbranch_execz .LBB4_111
; %bb.113:                              ;   in Loop: Header=BB4_112 Depth=3
	s_waitcnt vmcnt(0)
	v_cmp_ne_u32_e32 vcc, v50, v17
	v_cmp_ne_u32_e64 s[18:19], v50, v19
	s_or_b64 s[18:19], vcc, s[18:19]
	v_mov_b32_e32 v35, 0
	s_and_saveexec_b64 s[42:43], s[18:19]
	s_cbranch_execz .LBB4_110
; %bb.114:                              ;   in Loop: Header=BB4_112 Depth=3
	s_mov_b32 s48, 1
	s_mov_b64 s[44:45], 0
	v_mov_b32_e32 v35, 0
	s_branch .LBB4_116
.LBB4_115:                              ;   in Loop: Header=BB4_116 Depth=4
	s_or_b64 exec, exec, s[46:47]
	s_and_b64 s[18:19], exec, s[18:19]
	s_or_b64 s[44:45], s[18:19], s[44:45]
	s_andn2_b64 exec, exec, s[44:45]
	s_cbranch_execz .LBB4_109
.LBB4_116:                              ;   Parent Loop BB4_21 Depth=1
                                        ;     Parent Loop BB4_66 Depth=2
                                        ;       Parent Loop BB4_112 Depth=3
                                        ; =>      This Inner Loop Header: Depth=4
	global_load_dwordx4 v[16:19], v[42:43], off glc slc
	s_add_i32 s48, s48, 1
	s_cmpk_lg_i32 s48, 0x2710
	s_cbranch_scc1 .LBB4_120
; %bb.117:                              ;   in Loop: Header=BB4_116 Depth=4
	s_trap 2
	ds_read_b64 v[32:33], v0
	v_mov_b32_e32 v35, v31
	s_waitcnt vmcnt(0) lgkmcnt(0)
	flat_load_dword v1, v[32:33] glc
	s_waitcnt vmcnt(0) lgkmcnt(0)
	buffer_invl2
	buffer_wbinvl1_vol
	v_cmp_ne_u32_e32 vcc, 0, v1
	s_and_saveexec_b64 s[18:19], vcc
	s_cbranch_execz .LBB4_119
; %bb.118:                              ;   in Loop: Header=BB4_116 Depth=4
	v_or_b32_e32 v35, 1, v31
	v_mov_b32_e32 v31, 1
	ds_write_b32 v0, v1
	s_trap 2
.LBB4_119:                              ;   in Loop: Header=BB4_116 Depth=4
	s_or_b64 exec, exec, s[18:19]
	v_mov_b32_e32 v1, v31
	s_mov_b32 s48, 0
	v_mov_b32_e32 v31, v35
	v_cmp_eq_u32_e32 vcc, 0, v1
	s_mov_b64 s[18:19], -1
	s_and_saveexec_b64 s[46:47], vcc
	s_cbranch_execz .LBB4_115
	s_branch .LBB4_121
.LBB4_120:                              ;   in Loop: Header=BB4_116 Depth=4
	v_mov_b32_e32 v1, 0
	v_cmp_eq_u32_e32 vcc, 0, v1
	s_mov_b64 s[18:19], -1
	s_and_saveexec_b64 s[46:47], vcc
	s_cbranch_execz .LBB4_115
.LBB4_121:                              ;   in Loop: Header=BB4_116 Depth=4
	s_waitcnt vmcnt(0)
	v_cmp_eq_u32_e32 vcc, v50, v17
	v_cmp_eq_u32_e64 s[18:19], v50, v19
	s_and_b64 s[18:19], vcc, s[18:19]
	s_orn2_b64 s[18:19], s[18:19], exec
	s_branch .LBB4_115
.LBB4_122:                              ;   in Loop: Header=BB4_66 Depth=2
	s_or_b64 exec, exec, s[38:39]
	s_or_b64 exec, exec, s[36:37]
	s_and_saveexec_b64 s[18:19], s[10:11]
	s_cbranch_execz .LBB4_70
.LBB4_123:                              ;   in Loop: Header=BB4_66 Depth=2
	s_and_saveexec_b64 vcc, s[28:29]
	s_xor_b64 s[36:37], exec, vcc
	s_cbranch_execz .LBB4_138
; %bb.124:                              ;   in Loop: Header=BB4_66 Depth=2
	s_and_saveexec_b64 s[38:39], s[12:13]
	s_cbranch_execz .LBB4_137
; %bb.125:                              ;   in Loop: Header=BB4_66 Depth=2
	s_mov_b64 s[42:43], exec
	v_mbcnt_lo_u32_b32 v1, s42, 0
	v_mbcnt_hi_u32_b32 v1, s43, v1
	v_cmp_eq_u32_e32 vcc, 0, v1
	s_waitcnt vmcnt(0) lgkmcnt(0)
	buffer_wbinvl1_vol
	s_and_saveexec_b64 s[40:41], vcc
	s_cbranch_execz .LBB4_127
; %bb.126:                              ;   in Loop: Header=BB4_66 Depth=2
	s_bcnt1_i32_b64 vcc_lo, s[42:43]
	v_mov_b32_e32 v44, vcc_lo
	ds_add_u64 v0, v[44:45]
	s_trap 2
.LBB4_127:                              ;   in Loop: Header=BB4_66 Depth=2
	s_or_b64 exec, exec, s[40:41]
	s_trap 2
	ds_read_b64 v[2:3], v0
	v_accvgpr_read_b32 v4, a20
	v_add_co_u32_e32 v40, vcc, v40, v4
	v_accvgpr_read_b32 v1, a21
	v_addc_co_u32_e32 v41, vcc, v41, v1, vcc
	s_waitcnt lgkmcnt(0)
	v_cmp_lt_u64_e32 vcc, v[2:3], v[40:41]
	s_and_saveexec_b64 s[40:41], vcc
	s_cbranch_execz .LBB4_136
; %bb.128:                              ;   in Loop: Header=BB4_66 Depth=2
	s_mov_b32 s53, 0
	s_mov_b64 s[42:43], 0
                                        ; implicit-def: $sgpr44_sgpr45
                                        ; implicit-def: $sgpr46_sgpr47
	s_branch .LBB4_130
.LBB4_129:                              ;   in Loop: Header=BB4_130 Depth=3
	s_or_b64 exec, exec, s[50:51]
	s_and_b64 vcc, exec, vcc
	s_or_b64 s[42:43], vcc, s[42:43]
	s_andn2_b64 vcc, s[44:45], exec
	s_and_b64 s[44:45], s[46:47], exec
	s_or_b64 s[44:45], vcc, s[44:45]
	s_andn2_b64 exec, exec, s[42:43]
	s_cbranch_execz .LBB4_134
.LBB4_130:                              ;   Parent Loop BB4_21 Depth=1
                                        ;     Parent Loop BB4_66 Depth=2
                                        ; =>    This Inner Loop Header: Depth=3
	s_add_i32 s53, s53, 1
	s_cmpk_lg_i32 s53, 0x2710
	s_cselect_b64 s[48:49], -1, 0
	s_and_b64 vcc, exec, s[48:49]
                                        ; implicit-def: $sgpr50_sgpr51
	s_cbranch_vccnz .LBB4_132
; %bb.131:                              ;   in Loop: Header=BB4_130 Depth=3
	s_trap 2
	ds_read_b64 v[2:3], v0
	s_andn2_b64 s[48:49], s[48:49], exec
	s_mov_b32 s53, 0
	s_mov_b64 s[50:51], -1
	s_waitcnt lgkmcnt(0)
	flat_load_dword v1, v[2:3] glc
	s_waitcnt vmcnt(0) lgkmcnt(0)
	buffer_invl2
	buffer_wbinvl1_vol
	v_cmp_eq_u32_e32 vcc, 0, v1
	s_and_b64 vcc, vcc, exec
	s_or_b64 s[48:49], s[48:49], vcc
.LBB4_132:                              ;   in Loop: Header=BB4_130 Depth=3
	s_andn2_b64 s[46:47], s[46:47], exec
	s_and_b64 s[50:51], s[50:51], exec
	s_mov_b64 vcc, -1
	s_or_b64 s[46:47], s[46:47], s[50:51]
	s_and_saveexec_b64 s[50:51], s[48:49]
	s_cbranch_execz .LBB4_129
; %bb.133:                              ;   in Loop: Header=BB4_130 Depth=3
	s_sleep 1
	s_trap 2
	ds_read_b64 v[2:3], v0
	s_andn2_b64 s[46:47], s[46:47], exec
	s_waitcnt lgkmcnt(0)
	v_cmp_ge_u64_e32 vcc, v[2:3], v[40:41]
	s_orn2_b64 vcc, vcc, exec
	s_branch .LBB4_129
.LBB4_134:                              ;   in Loop: Header=BB4_66 Depth=2
	s_or_b64 exec, exec, s[42:43]
	s_and_saveexec_b64 vcc, s[44:45]
	s_xor_b64 vcc, exec, vcc
	s_cbranch_execz .LBB4_136
; %bb.135:                              ;   in Loop: Header=BB4_66 Depth=2
	v_mov_b32_e32 v1, 1
	ds_write_b32 v0, v1
	s_trap 2
.LBB4_136:                              ;   in Loop: Header=BB4_66 Depth=2
	s_or_b64 exec, exec, s[40:41]
	;;#ASMSTART
	s_wakeup
	;;#ASMEND
.LBB4_137:                              ;   in Loop: Header=BB4_66 Depth=2
	s_or_b64 exec, exec, s[38:39]
.LBB4_138:                              ;   in Loop: Header=BB4_66 Depth=2
	s_andn2_saveexec_b64 vcc, s[36:37]
	s_cbranch_execz .LBB4_140
; %bb.139:                              ;   in Loop: Header=BB4_66 Depth=2
	s_waitcnt vmcnt(0) lgkmcnt(0)
	buffer_wbinvl1_vol
	s_barrier
.LBB4_140:                              ;   in Loop: Header=BB4_66 Depth=2
	s_or_b64 exec, exec, vcc
	s_or_b64 exec, exec, s[18:19]
	s_and_saveexec_b64 s[18:19], s[14:15]
	s_cbranch_execnz .LBB4_71
	s_branch .LBB4_72
.LBB4_141:                              ;   in Loop: Header=BB4_21 Depth=1
	v_pk_mov_b32 v[16:17], v[10:11], v[10:11] op_sel:[0,1]
	s_and_saveexec_b64 s[18:19], s[16:17]
	s_cbranch_execnz .LBB4_143
	s_branch .LBB4_162
.LBB4_142:                              ;   in Loop: Header=BB4_21 Depth=1
	v_accvgpr_read_b32 v59, a3
	v_accvgpr_read_b32 v33, a7
	;; [unrolled: 1-line block ×5, first 2 shown]
	v_pk_mov_b32 v[16:17], v[10:11], v[10:11] op_sel:[0,1]
	v_accvgpr_read_b32 v58, a2
	v_accvgpr_read_b32 v32, a6
	;; [unrolled: 1-line block ×6, first 2 shown]
	s_and_saveexec_b64 s[18:19], s[16:17]
	s_cbranch_execz .LBB4_162
.LBB4_143:                              ;   in Loop: Header=BB4_21 Depth=1
	flat_load_dword v4, v[22:23]
	s_waitcnt vmcnt(0) lgkmcnt(0)
	v_accvgpr_read_b32 v2, a8
	v_accvgpr_read_b32 v3, a9
	v_add_co_u32_e32 v5, vcc, v2, v8
	v_and_b32_e32 v2, 7, v36
	v_addc_co_u32_e32 v6, vcc, v3, v9, vcc
	v_accvgpr_read_b32 v0, a26
	v_mul_lo_u32 v2, v2, v62
	v_add_co_u32_e32 v0, vcc, v0, v8
	v_accvgpr_read_b32 v1, a27
	v_ashrrev_i32_e32 v3, 31, v2
	v_addc_co_u32_e32 v1, vcc, v1, v9, vcc
	v_lshlrev_b64 v[2:3], 4, v[2:3]
	v_accvgpr_read_b32 v8, a14
	v_accvgpr_read_b32 v9, a15
	v_add_co_u32_e32 v44, vcc, v8, v2
	v_addc_co_u32_e32 v56, vcc, v9, v3, vcc
	v_accvgpr_write_b32 a30, v42
	v_accvgpr_write_b32 a31, v43
	v_add_u32_e32 v21, 1, v36
	s_mov_b64 s[36:37], 0
	v_mov_b32_e32 v18, v24
	v_ashrrev_i32_e32 v7, 31, v4
	v_mul_lo_u32 v8, v47, v4
	v_mad_u64_u32 v[2:3], s[16:17], v46, v4, 0
	v_mul_lo_u32 v4, v46, v7
	v_add3_u32 v3, v3, v4, v8
	v_lshlrev_b64 v[2:3], 3, v[2:3]
	v_add_co_u32_e32 v2, vcc, v5, v2
	v_addc_co_u32_e32 v3, vcc, v6, v3, vcc
	v_accvgpr_read_b32 v4, a22
	v_accvgpr_read_b32 v5, a23
	v_add_co_u32_e32 v10, vcc, v2, v4
	v_addc_co_u32_e32 v11, vcc, v3, v5, vcc
	s_branch .LBB4_145
.LBB4_144:                              ;   in Loop: Header=BB4_145 Depth=2
	v_add_co_u32_e32 v10, vcc, v10, v28
	v_addc_co_u32_e32 v11, vcc, v11, v29, vcc
	v_add_co_u32_e32 v0, vcc, v0, v28
	v_addc_co_u32_e32 v1, vcc, v1, v29, vcc
	v_sub_u32_e32 v34, v34, v20
	v_cmp_gt_i32_e32 vcc, 1, v34
	s_or_b64 s[36:37], vcc, s[36:37]
	v_add_u32_e32 v18, v18, v20
	s_andn2_b64 exec, exec, s[36:37]
	s_cbranch_execz .LBB4_161
.LBB4_145:                              ;   Parent Loop BB4_21 Depth=1
                                        ; =>  This Loop Header: Depth=2
                                        ;       Child Loop BB4_149 Depth 3
	v_ashrrev_i32_e32 v19, 31, v18
	v_lshlrev_b64 v[2:3], 4, v[18:19]
	v_add_co_u32_e32 v42, vcc, v44, v2
	v_addc_co_u32_e32 v43, vcc, v56, v3, vcc
	global_load_dwordx2 v[6:7], v[10:11], off glc slc
	global_load_dwordx4 v[2:5], v[42:43], off glc slc
	v_cmp_eq_u32_e32 vcc, 0, v31
	s_and_saveexec_b64 s[38:39], vcc
	s_cbranch_execz .LBB4_157
; %bb.146:                              ;   in Loop: Header=BB4_145 Depth=2
	s_waitcnt vmcnt(0)
	v_cmp_ne_u32_e32 vcc, v21, v3
	v_cmp_ne_u32_e64 s[16:17], v21, v5
	s_or_b64 s[16:17], vcc, s[16:17]
	v_mov_b32_e32 v31, 0
	s_and_saveexec_b64 s[40:41], s[16:17]
	s_cbranch_execz .LBB4_156
; %bb.147:                              ;   in Loop: Header=BB4_145 Depth=2
	s_mov_b32 s46, 1
	s_mov_b64 s[42:43], 0
	v_mov_b32_e32 v31, 0
	s_branch .LBB4_149
.LBB4_148:                              ;   in Loop: Header=BB4_149 Depth=3
	s_or_b64 exec, exec, s[44:45]
	s_and_b64 s[16:17], exec, s[16:17]
	s_or_b64 s[42:43], s[16:17], s[42:43]
	s_andn2_b64 exec, exec, s[42:43]
	s_cbranch_execz .LBB4_155
.LBB4_149:                              ;   Parent Loop BB4_21 Depth=1
                                        ;     Parent Loop BB4_145 Depth=2
                                        ; =>    This Inner Loop Header: Depth=3
	global_load_dwordx4 v[2:5], v[42:43], off glc slc
	s_add_i32 s46, s46, 1
	s_cmpk_lg_i32 s46, 0x2710
	s_cbranch_scc1 .LBB4_153
; %bb.150:                              ;   in Loop: Header=BB4_149 Depth=3
	s_trap 2
	ds_read_b64 v[8:9], v0
	s_waitcnt vmcnt(0) lgkmcnt(0)
	flat_load_dword v8, v[8:9] glc
	s_waitcnt vmcnt(0) lgkmcnt(0)
	buffer_invl2
	buffer_wbinvl1_vol
	v_cmp_ne_u32_e32 vcc, 0, v8
	s_and_saveexec_b64 s[16:17], vcc
	s_cbranch_execz .LBB4_152
; %bb.151:                              ;   in Loop: Header=BB4_149 Depth=3
	v_mov_b32_e32 v31, 1
	ds_write_b32 v0, v8
	s_trap 2
.LBB4_152:                              ;   in Loop: Header=BB4_149 Depth=3
	s_or_b64 exec, exec, s[16:17]
	s_mov_b32 s46, 0
	v_mov_b32_e32 v8, v31
	v_cmp_eq_u32_e32 vcc, 0, v8
	s_mov_b64 s[16:17], -1
	s_and_saveexec_b64 s[44:45], vcc
	s_cbranch_execz .LBB4_148
	s_branch .LBB4_154
.LBB4_153:                              ;   in Loop: Header=BB4_149 Depth=3
	v_mov_b32_e32 v8, 0
	v_cmp_eq_u32_e32 vcc, 0, v8
	s_mov_b64 s[16:17], -1
	s_and_saveexec_b64 s[44:45], vcc
	s_cbranch_execz .LBB4_148
.LBB4_154:                              ;   in Loop: Header=BB4_149 Depth=3
	s_waitcnt vmcnt(0)
	v_cmp_eq_u32_e32 vcc, v21, v3
	v_cmp_eq_u32_e64 s[16:17], v21, v5
	s_and_b64 s[16:17], vcc, s[16:17]
	s_orn2_b64 s[16:17], s[16:17], exec
	s_branch .LBB4_148
.LBB4_155:                              ;   in Loop: Header=BB4_145 Depth=2
	s_or_b64 exec, exec, s[42:43]
.LBB4_156:                              ;   in Loop: Header=BB4_145 Depth=2
	s_or_b64 exec, exec, s[40:41]
.LBB4_157:                              ;   in Loop: Header=BB4_145 Depth=2
	s_or_b64 exec, exec, s[38:39]
	s_waitcnt vmcnt(0)
	v_mov_b32_e32 v3, v45
	v_mov_b32_e32 v5, v4
	v_mul_lo_u32 v4, v6, v27
	v_mul_lo_u32 v7, v7, v26
	v_mad_u64_u32 v[2:3], s[16:17], v6, v26, v[2:3]
	v_add3_u32 v3, v7, v3, v4
	v_add_co_u32_e32 v2, vcc, 0, v2
	v_addc_co_u32_e32 v3, vcc, v3, v5, vcc
	v_mov_b32_e32 v4, v30
	;;#ASMSTART
	;;#ASMEND
	v_cmp_ne_u32_e32 vcc, 0, v4
	s_cmp_lg_u64 vcc, exec
	s_mov_b64 s[16:17], -1
	s_cbranch_scc0 .LBB4_159
; %bb.158:                              ;   in Loop: Header=BB4_145 Depth=2
	flat_store_dwordx2 v[0:1], v[2:3]
	s_mov_b64 s[16:17], 0
.LBB4_159:                              ;   in Loop: Header=BB4_145 Depth=2
	s_andn2_b64 vcc, exec, s[16:17]
	s_cbranch_vccnz .LBB4_144
; %bb.160:                              ;   in Loop: Header=BB4_145 Depth=2
	global_store_dwordx2 v[0:1], v[2:3], off
	s_branch .LBB4_144
.LBB4_161:                              ;   in Loop: Header=BB4_21 Depth=1
	s_or_b64 exec, exec, s[36:37]
	v_accvgpr_read_b32 v59, a3
	v_accvgpr_read_b32 v33, a7
	;; [unrolled: 1-line block ×6, first 2 shown]
.LBB4_162:                              ;   in Loop: Header=BB4_21 Depth=1
	s_or_b64 exec, exec, s[18:19]
	s_and_saveexec_b64 s[16:17], s[10:11]
	s_cbranch_execnz .LBB4_164
; %bb.163:                              ;   in Loop: Header=BB4_21 Depth=1
	s_or_b64 exec, exec, s[16:17]
	s_and_saveexec_b64 s[16:17], s[14:15]
	s_cbranch_execz .LBB4_20
	s_branch .LBB4_182
.LBB4_164:                              ;   in Loop: Header=BB4_21 Depth=1
	s_and_saveexec_b64 s[18:19], s[28:29]
	s_xor_b64 s[18:19], exec, s[18:19]
	s_cbranch_execz .LBB4_179
; %bb.165:                              ;   in Loop: Header=BB4_21 Depth=1
	s_and_saveexec_b64 s[36:37], s[12:13]
	s_cbranch_execz .LBB4_178
; %bb.166:                              ;   in Loop: Header=BB4_21 Depth=1
	s_mov_b64 s[40:41], exec
	v_mbcnt_lo_u32_b32 v0, s40, 0
	v_mbcnt_hi_u32_b32 v0, s41, v0
	v_cmp_eq_u32_e32 vcc, 0, v0
	s_waitcnt vmcnt(0) lgkmcnt(0)
	buffer_wbinvl1_vol
	s_and_saveexec_b64 s[38:39], vcc
	s_cbranch_execz .LBB4_168
; %bb.167:                              ;   in Loop: Header=BB4_21 Depth=1
	s_bcnt1_i32_b64 vcc_lo, s[40:41]
	v_mov_b32_e32 v44, vcc_lo
	ds_add_u64 v0, v[44:45]
	s_trap 2
.LBB4_168:                              ;   in Loop: Header=BB4_21 Depth=1
	s_or_b64 exec, exec, s[38:39]
	s_trap 2
	ds_read_b64 v[0:1], v0
	v_accvgpr_read_b32 v2, a20
	v_add_co_u32_e32 v40, vcc, v40, v2
	v_accvgpr_read_b32 v3, a21
	v_addc_co_u32_e32 v41, vcc, v41, v3, vcc
	s_waitcnt lgkmcnt(0)
	v_cmp_lt_u64_e32 vcc, v[0:1], v[40:41]
	s_and_saveexec_b64 s[38:39], vcc
	s_cbranch_execz .LBB4_177
; %bb.169:                              ;   in Loop: Header=BB4_21 Depth=1
	s_mov_b32 s50, 0
	s_mov_b64 s[40:41], 0
                                        ; implicit-def: $sgpr42_sgpr43
                                        ; implicit-def: $sgpr44_sgpr45
	s_branch .LBB4_171
.LBB4_170:                              ;   in Loop: Header=BB4_171 Depth=2
	s_or_b64 exec, exec, s[48:49]
	s_and_b64 vcc, exec, vcc
	s_or_b64 s[40:41], vcc, s[40:41]
	s_andn2_b64 vcc, s[42:43], exec
	s_and_b64 s[42:43], s[44:45], exec
	s_or_b64 s[42:43], vcc, s[42:43]
	s_andn2_b64 exec, exec, s[40:41]
	s_cbranch_execz .LBB4_175
.LBB4_171:                              ;   Parent Loop BB4_21 Depth=1
                                        ; =>  This Inner Loop Header: Depth=2
	s_add_i32 s50, s50, 1
	s_cmpk_lg_i32 s50, 0x2710
	s_cselect_b64 s[46:47], -1, 0
	s_and_b64 vcc, exec, s[46:47]
                                        ; implicit-def: $sgpr48_sgpr49
	s_cbranch_vccnz .LBB4_173
; %bb.172:                              ;   in Loop: Header=BB4_171 Depth=2
	s_trap 2
	ds_read_b64 v[0:1], v0
	s_andn2_b64 s[46:47], s[46:47], exec
	s_mov_b32 s50, 0
	s_mov_b64 s[48:49], -1
	s_waitcnt lgkmcnt(0)
	flat_load_dword v0, v[0:1] glc
	s_waitcnt vmcnt(0) lgkmcnt(0)
	buffer_invl2
	buffer_wbinvl1_vol
	v_cmp_eq_u32_e32 vcc, 0, v0
	s_and_b64 vcc, vcc, exec
	s_or_b64 s[46:47], s[46:47], vcc
.LBB4_173:                              ;   in Loop: Header=BB4_171 Depth=2
	s_andn2_b64 s[44:45], s[44:45], exec
	s_and_b64 s[48:49], s[48:49], exec
	s_mov_b64 vcc, -1
	s_or_b64 s[44:45], s[44:45], s[48:49]
	s_and_saveexec_b64 s[48:49], s[46:47]
	s_cbranch_execz .LBB4_170
; %bb.174:                              ;   in Loop: Header=BB4_171 Depth=2
	s_sleep 1
	s_trap 2
	ds_read_b64 v[0:1], v0
	s_andn2_b64 s[44:45], s[44:45], exec
	s_waitcnt lgkmcnt(0)
	v_cmp_ge_u64_e32 vcc, v[0:1], v[40:41]
	s_orn2_b64 vcc, vcc, exec
	s_branch .LBB4_170
.LBB4_175:                              ;   in Loop: Header=BB4_21 Depth=1
	s_or_b64 exec, exec, s[40:41]
	s_and_saveexec_b64 vcc, s[42:43]
	s_xor_b64 vcc, exec, vcc
	s_cbranch_execz .LBB4_177
; %bb.176:                              ;   in Loop: Header=BB4_21 Depth=1
	v_mov_b32_e32 v0, 1
	ds_write_b32 v0, v0
	s_trap 2
.LBB4_177:                              ;   in Loop: Header=BB4_21 Depth=1
	s_or_b64 exec, exec, s[38:39]
	;;#ASMSTART
	s_wakeup
	;;#ASMEND
.LBB4_178:                              ;   in Loop: Header=BB4_21 Depth=1
	s_or_b64 exec, exec, s[36:37]
.LBB4_179:                              ;   in Loop: Header=BB4_21 Depth=1
	s_andn2_saveexec_b64 s[18:19], s[18:19]
	s_cbranch_execz .LBB4_181
; %bb.180:                              ;   in Loop: Header=BB4_21 Depth=1
	s_waitcnt vmcnt(0) lgkmcnt(0)
	buffer_wbinvl1_vol
	s_barrier
.LBB4_181:                              ;   in Loop: Header=BB4_21 Depth=1
	s_or_b64 exec, exec, s[18:19]
	s_or_b64 exec, exec, s[16:17]
	s_and_saveexec_b64 s[16:17], s[14:15]
	s_cbranch_execz .LBB4_20
.LBB4_182:                              ;   in Loop: Header=BB4_21 Depth=1
	v_add_co_u32_e32 v48, vcc, 1, v48
	v_accvgpr_read_b32 v0, a16
	v_addc_co_u32_e32 v49, vcc, 0, v49, vcc
	v_accvgpr_read_b32 v1, a17
	flat_store_dwordx2 v[0:1], v[48:49]
	s_branch .LBB4_20
.LBB4_183:
	s_or_b64 exec, exec, s[26:27]
	v_accvgpr_read_b32 v19, a11
	v_accvgpr_read_b32 v29, a13
	v_accvgpr_read_b32 v31, a0
	v_accvgpr_read_b32 v11, a1
	v_accvgpr_read_b32 v18, a10
	v_accvgpr_read_b32 v28, a12
.LBB4_184:
	s_or_b64 exec, exec, s[24:25]
; %bb.185:
	s_and_saveexec_b64 s[6:7], s[22:23]
	s_cbranch_execnz .LBB4_188
; %bb.186:
	s_or_b64 exec, exec, s[6:7]
	s_and_saveexec_b64 s[6:7], s[4:5]
	s_cbranch_execnz .LBB4_189
.LBB4_187:
	s_or_b64 exec, exec, s[6:7]
	v_cmp_ne_u32_e32 vcc, 64, v20
	s_and_saveexec_b64 s[4:5], vcc
	s_cbranch_execnz .LBB4_190
	s_branch .LBB4_207
.LBB4_188:
	s_waitcnt vmcnt(0) lgkmcnt(0)
	flat_store_dwordx2 v[28:29], v[48:49] offset:104
	s_or_b64 exec, exec, s[6:7]
	s_and_saveexec_b64 s[6:7], s[4:5]
	s_cbranch_execz .LBB4_187
.LBB4_189:
	s_waitcnt vmcnt(0) lgkmcnt(0)
	flat_store_dwordx2 v[18:19], v[14:15] offset:104
	s_or_b64 exec, exec, s[6:7]
	v_cmp_ne_u32_e32 vcc, 64, v20
	s_and_saveexec_b64 s[4:5], vcc
	s_cbranch_execz .LBB4_207
.LBB4_190:
	v_cmp_ne_u32_sdwa s[6:7], v11, v20 src0_sel:WORD_0 src1_sel:DWORD
	s_and_saveexec_b64 s[8:9], s[6:7]
	s_xor_b64 s[6:7], exec, s[8:9]
	s_cbranch_execz .LBB4_205
; %bb.191:
	v_and_b32_e32 v0, 63, v31
	v_cmp_eq_u32_e32 vcc, 0, v0
	s_and_saveexec_b64 s[8:9], vcc
	s_cbranch_execz .LBB4_204
; %bb.192:
	s_mov_b64 s[12:13], exec
	v_mbcnt_lo_u32_b32 v0, s12, 0
	v_mbcnt_hi_u32_b32 v0, s13, v0
	v_cmp_eq_u32_e32 vcc, 0, v0
	s_waitcnt vmcnt(0) lgkmcnt(0)
	buffer_wbinvl1_vol
	s_and_saveexec_b64 s[10:11], vcc
	s_cbranch_execz .LBB4_194
; %bb.193:
	s_bcnt1_i32_b64 s12, s[12:13]
	v_mov_b32_e32 v0, s12
	v_mov_b32_e32 v1, 0
	ds_add_u64 v0, v[0:1]
	s_trap 2
.LBB4_194:
	s_or_b64 exec, exec, s[10:11]
	v_ashrrev_i32_e32 v0, 31, v20
	v_lshrrev_b32_e32 v0, 26, v0
	v_add_u32_e32 v0, v20, v0
	v_ashrrev_i32_e32 v0, 6, v0
	s_trap 2
	ds_read_b64 v[2:3], v0
	v_ashrrev_i32_e32 v1, 31, v0
	v_add_co_u32_e32 v0, vcc, v40, v0
	v_addc_co_u32_e32 v1, vcc, v41, v1, vcc
	s_waitcnt lgkmcnt(0)
	v_cmp_lt_u64_e32 vcc, v[2:3], v[0:1]
	s_and_saveexec_b64 s[10:11], vcc
	s_cbranch_execz .LBB4_203
; %bb.195:
	s_mov_b32 s24, 0
	s_mov_b64 s[12:13], 0
                                        ; implicit-def: $sgpr14_sgpr15
                                        ; implicit-def: $sgpr16_sgpr17
	s_branch .LBB4_197
.LBB4_196:                              ;   in Loop: Header=BB4_197 Depth=1
	s_or_b64 exec, exec, s[22:23]
	s_and_b64 s[18:19], exec, s[20:21]
	s_or_b64 s[12:13], s[18:19], s[12:13]
	s_andn2_b64 s[14:15], s[14:15], exec
	s_and_b64 s[18:19], s[16:17], exec
	s_or_b64 s[14:15], s[14:15], s[18:19]
	s_andn2_b64 exec, exec, s[12:13]
	s_cbranch_execz .LBB4_201
.LBB4_197:                              ; =>This Inner Loop Header: Depth=1
	s_add_i32 s24, s24, 1
	s_cmpk_lg_i32 s24, 0x2710
	s_cselect_b64 s[18:19], -1, 0
	s_and_b64 vcc, exec, s[18:19]
                                        ; implicit-def: $sgpr22_sgpr23
	s_cbranch_vccnz .LBB4_199
; %bb.198:                              ;   in Loop: Header=BB4_197 Depth=1
	s_trap 2
	ds_read_b64 v[2:3], v0
	s_andn2_b64 s[18:19], s[18:19], exec
	s_mov_b32 s24, 0
	s_mov_b64 s[22:23], -1
	s_waitcnt lgkmcnt(0)
	flat_load_dword v2, v[2:3] glc
	s_waitcnt vmcnt(0) lgkmcnt(0)
	buffer_invl2
	buffer_wbinvl1_vol
	v_cmp_eq_u32_e32 vcc, 0, v2
	s_and_b64 s[20:21], vcc, exec
	s_or_b64 s[18:19], s[18:19], s[20:21]
.LBB4_199:                              ;   in Loop: Header=BB4_197 Depth=1
	s_andn2_b64 s[16:17], s[16:17], exec
	s_and_b64 s[22:23], s[22:23], exec
	s_mov_b64 s[20:21], -1
	s_or_b64 s[16:17], s[16:17], s[22:23]
	s_and_saveexec_b64 s[22:23], s[18:19]
	s_cbranch_execz .LBB4_196
; %bb.200:                              ;   in Loop: Header=BB4_197 Depth=1
	s_sleep 1
	s_trap 2
	ds_read_b64 v[2:3], v0
	s_andn2_b64 s[16:17], s[16:17], exec
	s_waitcnt lgkmcnt(0)
	v_cmp_ge_u64_e32 vcc, v[2:3], v[0:1]
	s_orn2_b64 s[20:21], vcc, exec
	s_branch .LBB4_196
.LBB4_201:
	s_or_b64 exec, exec, s[12:13]
	s_and_saveexec_b64 s[12:13], s[14:15]
	s_xor_b64 s[12:13], exec, s[12:13]
	s_cbranch_execz .LBB4_203
; %bb.202:
	v_mov_b32_e32 v0, 1
	ds_write_b32 v0, v0
	s_trap 2
.LBB4_203:
	s_or_b64 exec, exec, s[10:11]
	;;#ASMSTART
	s_wakeup
	;;#ASMEND
.LBB4_204:
	s_or_b64 exec, exec, s[8:9]
.LBB4_205:
	s_andn2_saveexec_b64 s[6:7], s[6:7]
	s_cbranch_execz .LBB4_207
; %bb.206:
	s_waitcnt vmcnt(0) lgkmcnt(0)
	buffer_wbinvl1_vol
	s_barrier
.LBB4_207:
	s_or_b64 exec, exec, s[4:5]
	buffer_load_dword a41, off, s[0:3], s32 ; 4-byte Folded Reload
	buffer_load_dword a40, off, s[0:3], s32 offset:4 ; 4-byte Folded Reload
	buffer_load_dword a38, off, s[0:3], s32 offset:8 ; 4-byte Folded Reload
	;; [unrolled: 1-line block ×23, first 2 shown]
	v_readlane_b32 s30, v63, 20
	v_readlane_b32 s31, v63, 21
	;; [unrolled: 1-line block ×22, first 2 shown]
	s_or_saveexec_b64 s[4:5], -1
	buffer_load_dword v63, off, s[0:3], s32 offset:96 ; 4-byte Folded Reload
	s_mov_b64 exec, s[4:5]
	s_waitcnt vmcnt(0) lgkmcnt(0)
	s_setpc_b64 s[30:31]
.Lfunc_end4:
	.size	_ZN12_GLOBAL__N_17runRingIm13FuncPreMulSumImE7ProtoLLLi0ELi4ELi0EEEviiP15ncclDevWorkColl, .Lfunc_end4-_ZN12_GLOBAL__N_17runRingIm13FuncPreMulSumImE7ProtoLLLi0ELi4ELi0EEEviiP15ncclDevWorkColl
                                        ; -- End function
	.section	.AMDGPU.csdata,"",@progbits
; Function info:
; codeLenInByte = 7800
; NumSgprs: 58
; NumVgprs: 64
; NumAgprs: 42
; TotalNumVgprs: 106
; ScratchSize: 104
; MemoryBound: 0
	.text
	.p2align	2                               ; -- Begin function _Z53ncclDevFunc_ReduceScatter_RING_LL_PreMulSum_u64_0_0_4v
	.type	_Z53ncclDevFunc_ReduceScatter_RING_LL_PreMulSum_u64_0_0_4v,@function
_Z53ncclDevFunc_ReduceScatter_RING_LL_PreMulSum_u64_0_0_4v: ; @_Z53ncclDevFunc_ReduceScatter_RING_LL_PreMulSum_u64_0_0_4v
; %bb.0:
	s_waitcnt vmcnt(0) expcnt(0) lgkmcnt(0)
	s_mov_b32 s4, s33
	s_mov_b32 s33, s32
	s_or_saveexec_b64 s[6:7], -1
	buffer_store_dword v43, off, s[0:3], s33 offset:16 ; 4-byte Folded Spill
	s_mov_b64 exec, s[6:7]
	v_writelane_b32 v43, s4, 30
	s_addk_i32 s32, 0x800
	buffer_store_dword v40, off, s[0:3], s33 offset:12 ; 4-byte Folded Spill
	buffer_store_dword v41, off, s[0:3], s33 offset:8 ; 4-byte Folded Spill
	;; [unrolled: 1-line block ×3, first 2 shown]
	buffer_store_dword v63, off, s[0:3], s33 ; 4-byte Folded Spill
	v_writelane_b32 v43, s34, 0
	v_writelane_b32 v43, s35, 1
	;; [unrolled: 1-line block ×30, first 2 shown]
	s_trap 2
	ds_read_b32 v0, v0
	v_mov_b32_e32 v40, v31
	v_and_b32_e32 v41, 0x3ff, v40
	s_mov_b32 s56, s12
	s_mov_b64 s[54:55], s[8:9]
	s_waitcnt lgkmcnt(0)
	v_cmp_lt_i32_e32 vcc, v41, v0
	s_and_saveexec_b64 s[4:5], vcc
	s_cbranch_execz .LBB5_5
; %bb.1:
	s_load_dword s6, s[54:55], 0x0
	v_mov_b32_e32 v1, 0
	v_mov_b32_e32 v4, v41
                                        ; implicit-def: $vgpr2
	s_waitcnt lgkmcnt(0)
	s_cmp_lt_u32 s56, s6
	s_cselect_b32 s6, 12, 18
	s_add_u32 s6, s54, s6
	s_addc_u32 s7, s55, 0
	global_load_ushort v1, v1, s[6:7]
	s_trap 2
	ds_read_b32 v3, v0
	s_mov_b64 s[6:7], 0
	s_waitcnt vmcnt(0) lgkmcnt(0)
	v_mul_lo_u32 v3, v3, v1
	s_branch .LBB5_3
.LBB5_2:                                ;   in Loop: Header=BB5_3 Depth=1
	s_or_b64 exec, exec, s[8:9]
	v_add_u32_e32 v4, v4, v1
	v_cmp_ge_i32_e32 vcc, v4, v0
	s_or_b64 s[6:7], vcc, s[6:7]
	v_add_u32_e32 v2, v2, v3
	s_andn2_b64 exec, exec, s[6:7]
	s_cbranch_execz .LBB5_5
.LBB5_3:                                ; =>This Inner Loop Header: Depth=1
	ds_read_b32 v5, v2
	s_waitcnt lgkmcnt(0)
	v_and_b32_e32 v5, 0x1000000, v5
	v_cmp_ne_u32_e32 vcc, 0, v5
	s_and_saveexec_b64 s[8:9], vcc
	s_cbranch_execz .LBB5_2
; %bb.4:                                ;   in Loop: Header=BB5_3 Depth=1
	ds_read_b64 v[6:7], v2 offset:104
	s_waitcnt lgkmcnt(0)
	flat_load_dwordx2 v[6:7], v[6:7]
	s_waitcnt vmcnt(0) lgkmcnt(0)
	ds_write_b64 v2, v[6:7] offset:104
	s_branch .LBB5_2
.LBB5_5:
	s_or_b64 exec, exec, s[4:5]
	s_waitcnt lgkmcnt(0)
	s_barrier
	s_trap 2
	ds_read_b32 v0, v0
	s_waitcnt lgkmcnt(0)
	v_cmp_gt_i32_e32 vcc, 1, v0
	s_cbranch_vccnz .LBB5_13
; %bb.6:
	s_mov_b32 s57, 0
	s_mov_b64 s[58:59], src_shared_base
	v_mov_b32_e32 v42, 6
	s_branch .LBB5_8
.LBB5_7:                                ;   in Loop: Header=BB5_8 Depth=1
	s_or_b64 exec, exec, s[60:61]
	s_trap 2
	ds_read_b32 v0, v0
	s_add_i32 s57, s57, 1
	s_waitcnt lgkmcnt(0)
	v_cmp_lt_i32_e32 vcc, s57, v0
	s_cbranch_vccz .LBB5_13
.LBB5_8:                                ; =>This Inner Loop Header: Depth=1
	s_trap 2
	ds_read_b32 v0, v0
	s_cmp_eq_u32 s57, 0
	s_cbranch_scc1 .LBB5_11
; %bb.9:                                ;   in Loop: Header=BB5_8 Depth=1
	s_trap 2
	s_waitcnt lgkmcnt(0)
	ds_read_b32 v1, v0
	s_waitcnt lgkmcnt(0)
	v_xor_b32_e32 v1, v1, v0
	v_and_b32_e32 v1, 0xff0000, v1
	v_cmp_eq_u32_e32 vcc, 0, v1
	s_cbranch_vccnz .LBB5_11
; %bb.10:                               ;   in Loop: Header=BB5_8 Depth=1
	s_barrier
	ds_read_b32 v0, v0
.LBB5_11:                               ;   in Loop: Header=BB5_8 Depth=1
	s_waitcnt lgkmcnt(0)
	v_lshlrev_b32_sdwa v1, v42, v0 dst_sel:DWORD dst_unused:UNUSED_PAD src0_sel:DWORD src1_sel:BYTE_2
	v_cmp_lt_u32_e32 vcc, v41, v1
	s_and_saveexec_b64 s[60:61], vcc
	s_cbranch_execz .LBB5_7
; %bb.12:                               ;   in Loop: Header=BB5_8 Depth=1
	s_mov_b64 s[8:9], s[54:55]
	s_mov_b32 s12, s56
	v_mov_b32_e32 v31, v40
	v_mov_b32_e32 v0, v41
	;; [unrolled: 1-line block ×3, first 2 shown]
	s_getpc_b64 s[4:5]
	s_add_u32 s4, s4, _ZN12_GLOBAL__N_17runRingIm13FuncPreMulSumImE7ProtoLLLi0ELi4ELi0EEEviiP15ncclDevWorkColl@rel32@lo+4
	s_addc_u32 s5, s5, _ZN12_GLOBAL__N_17runRingIm13FuncPreMulSumImE7ProtoLLLi0ELi4ELi0EEEviiP15ncclDevWorkColl@rel32@hi+12
	s_swappc_b64 s[30:31], s[4:5]
	s_branch .LBB5_7
.LBB5_13:
	buffer_load_dword v63, off, s[0:3], s33 ; 4-byte Folded Reload
	buffer_load_dword v42, off, s[0:3], s33 offset:4 ; 4-byte Folded Reload
	buffer_load_dword v41, off, s[0:3], s33 offset:8 ; 4-byte Folded Reload
	;; [unrolled: 1-line block ×3, first 2 shown]
	v_readlane_b32 s30, v43, 28
	v_readlane_b32 s31, v43, 29
	;; [unrolled: 1-line block ×31, first 2 shown]
	s_or_saveexec_b64 s[6:7], -1
	buffer_load_dword v43, off, s[0:3], s33 offset:16 ; 4-byte Folded Reload
	s_mov_b64 exec, s[6:7]
	s_addk_i32 s32, 0xf800
	s_mov_b32 s33, s4
	s_waitcnt vmcnt(0)
	s_setpc_b64 s[30:31]
.Lfunc_end5:
	.size	_Z53ncclDevFunc_ReduceScatter_RING_LL_PreMulSum_u64_0_0_4v, .Lfunc_end5-_Z53ncclDevFunc_ReduceScatter_RING_LL_PreMulSum_u64_0_0_4v
                                        ; -- End function
	.section	.AMDGPU.csdata,"",@progbits
; Function info:
; codeLenInByte = 1072
; NumSgprs: 66
; NumVgprs: 64
; NumAgprs: 42
; TotalNumVgprs: 106
; ScratchSize: 136
; MemoryBound: 0
	.text
	.p2alignl 6, 3212836864
	.fill 256, 4, 3212836864
	.type	__hip_cuid_a802646e585f98bb,@object ; @__hip_cuid_a802646e585f98bb
	.section	.bss,"aw",@nobits
	.globl	__hip_cuid_a802646e585f98bb
__hip_cuid_a802646e585f98bb:
	.byte	0                               ; 0x0
	.size	__hip_cuid_a802646e585f98bb, 1

	.ident	"AMD clang version 19.0.0git (https://github.com/RadeonOpenCompute/llvm-project roc-6.4.0 25133 c7fe45cf4b819c5991fe208aaa96edf142730f1d)"
	.section	".note.GNU-stack","",@progbits
	.addrsig
	.addrsig_sym _Z53ncclDevFunc_ReduceScatter_RING_LL_PreMulSum_u64_0_0_1v
	.addrsig_sym _Z53ncclDevFunc_ReduceScatter_RING_LL_PreMulSum_u64_0_0_2v
	.addrsig_sym _Z53ncclDevFunc_ReduceScatter_RING_LL_PreMulSum_u64_0_0_4v
	.addrsig_sym ncclShmem
	.addrsig_sym __hip_cuid_a802646e585f98bb
	.amdgpu_metadata
---
amdhsa.kernels:  []
amdhsa.target:   amdgcn-amd-amdhsa--gfx90a
amdhsa.version:
  - 1
  - 2
...

	.end_amdgpu_metadata
